;; amdgpu-corpus repo=ROCm/hipCUB kind=compiled arch=gfx90a opt=O3
	.text
	.amdgcn_target "amdgcn-amd-amdhsa--gfx90a"
	.amdhsa_code_object_version 6
	.section	.text._Z16histogram_kernelILj1024ELj1ELj1024ELN6hipcub23BlockHistogramAlgorithmE1EtEvPT3_S3_,"axG",@progbits,_Z16histogram_kernelILj1024ELj1ELj1024ELN6hipcub23BlockHistogramAlgorithmE1EtEvPT3_S3_,comdat
	.protected	_Z16histogram_kernelILj1024ELj1ELj1024ELN6hipcub23BlockHistogramAlgorithmE1EtEvPT3_S3_ ; -- Begin function _Z16histogram_kernelILj1024ELj1ELj1024ELN6hipcub23BlockHistogramAlgorithmE1EtEvPT3_S3_
	.globl	_Z16histogram_kernelILj1024ELj1ELj1024ELN6hipcub23BlockHistogramAlgorithmE1EtEvPT3_S3_
	.p2align	8
	.type	_Z16histogram_kernelILj1024ELj1ELj1024ELN6hipcub23BlockHistogramAlgorithmE1EtEvPT3_S3_,@function
_Z16histogram_kernelILj1024ELj1ELj1024ELN6hipcub23BlockHistogramAlgorithmE1EtEvPT3_S3_: ; @_Z16histogram_kernelILj1024ELj1ELj1024ELN6hipcub23BlockHistogramAlgorithmE1EtEvPT3_S3_
; %bb.0:
	s_load_dwordx4 s[24:27], s[4:5], 0x0
	s_load_dword s0, s[4:5], 0x1c
	v_and_b32_e32 v4, 0x3ff, v0
	v_lshl_or_b32 v6, s6, 10, v4
	v_mov_b32_e32 v7, 0
	v_lshlrev_b64 v[2:3], 1, v[6:7]
	s_waitcnt lgkmcnt(0)
	v_mov_b32_e32 v1, s25
	v_add_co_u32_e32 v8, vcc, s24, v2
	v_addc_co_u32_e32 v9, vcc, v1, v3, vcc
	global_load_ushort v12, v[8:9], off
	v_mbcnt_lo_u32_b32 v1, -1, 0
	v_bfe_u32 v9, v0, 10, 10
	v_bfe_u32 v15, v0, 20, 10
	s_lshr_b32 s1, s0, 16
	v_mbcnt_hi_u32_b32 v13, -1, v1
	v_lshlrev_b32_e32 v5, 1, v4
	s_and_b32 s0, s0, 0xffff
	v_mad_u32_u24 v1, v15, s1, v9
	v_mov_b32_e32 v6, 4
	v_mad_u64_u32 v[18:19], s[0:1], v1, s0, v[4:5]
	v_lshrrev_b32_e32 v15, 6, v18
	v_mov_b32_e32 v0, v7
	v_mov_b32_e32 v8, v7
	;; [unrolled: 1-line block ×5, first 2 shown]
	v_lshlrev_b32_e32 v10, 4, v4
	v_lshrrev_b32_e32 v14, 6, v4
	v_add_u32_e32 v11, 64, v10
	ds_write_b16 v5, v7 offset:16448
	s_waitcnt lgkmcnt(0)
	s_barrier
	ds_write2_b32 v10, v7, v7 offset0:16 offset1:17
	ds_write2_b32 v10, v7, v7 offset0:18 offset1:19
	s_waitcnt lgkmcnt(0)
	s_barrier
	s_waitcnt lgkmcnt(0)
	; wave barrier
	s_waitcnt vmcnt(0)
	v_lshlrev_b16_sdwa v6, v6, v12 dst_sel:DWORD dst_unused:UNUSED_PAD src0_sel:DWORD src1_sel:BYTE_0
	v_and_b32_e32 v19, 1, v12
	v_add_lshl_u32 v18, v15, v6, 2
	v_add_co_u32_e32 v6, vcc, -1, v19
	v_lshlrev_b32_e32 v1, 30, v12
	v_addc_co_u32_e64 v24, s[0:1], 0, -1, vcc
	v_lshlrev_b32_e32 v9, 29, v12
	v_lshlrev_b32_e32 v17, 28, v12
	v_cmp_ne_u32_e32 vcc, 0, v19
	v_cmp_gt_i64_e64 s[0:1], 0, v[0:1]
	v_not_b32_e32 v0, v1
	v_cmp_gt_i64_e64 s[2:3], 0, v[8:9]
	v_not_b32_e32 v1, v9
	v_cmp_gt_i64_e64 s[4:5], 0, v[16:17]
	v_not_b32_e32 v8, v17
	v_xor_b32_e32 v17, vcc_hi, v24
	v_xor_b32_e32 v6, vcc_lo, v6
	v_ashrrev_i32_e32 v0, 31, v0
	v_lshlrev_b32_e32 v21, 27, v12
	v_ashrrev_i32_e32 v1, 31, v1
	v_and_b32_e32 v17, exec_hi, v17
	v_and_b32_e32 v6, exec_lo, v6
	v_xor_b32_e32 v19, s1, v0
	v_xor_b32_e32 v0, s0, v0
	v_lshlrev_b32_e32 v23, 26, v12
	v_cmp_gt_i64_e64 s[6:7], 0, v[20:21]
	v_not_b32_e32 v9, v21
	v_ashrrev_i32_e32 v8, 31, v8
	v_xor_b32_e32 v20, s3, v1
	v_xor_b32_e32 v1, s2, v1
	v_and_b32_e32 v17, v17, v19
	v_and_b32_e32 v0, v6, v0
	v_lshlrev_b32_e32 v25, 25, v12
	v_not_b32_e32 v16, v23
	v_ashrrev_i32_e32 v9, 31, v9
	v_xor_b32_e32 v21, s5, v8
	v_xor_b32_e32 v8, s4, v8
	v_and_b32_e32 v6, v17, v20
	v_and_b32_e32 v0, v0, v1
	v_cmp_gt_i64_e64 s[8:9], 0, v[22:23]
	v_ashrrev_i32_e32 v16, 31, v16
	v_xor_b32_e32 v22, s7, v9
	v_xor_b32_e32 v9, s6, v9
	v_and_b32_e32 v1, v6, v21
	v_and_b32_e32 v0, v0, v8
	v_mov_b32_e32 v24, v7
	v_not_b32_e32 v6, v25
	v_xor_b32_e32 v23, s9, v16
	v_xor_b32_e32 v16, s8, v16
	v_and_b32_e32 v1, v1, v22
	v_and_b32_e32 v0, v0, v9
	v_cmp_gt_i64_e32 vcc, 0, v[24:25]
	v_ashrrev_i32_e32 v6, 31, v6
	v_and_b32_e32 v1, v1, v23
	v_and_b32_e32 v0, v0, v16
	v_xor_b32_e32 v8, vcc_hi, v6
	v_xor_b32_e32 v6, vcc_lo, v6
	v_and_b32_e32 v8, v1, v8
	v_and_b32_e32 v6, v0, v6
	v_lshlrev_b32_e32 v1, 24, v12
	v_mov_b32_e32 v0, v7
	v_cmp_gt_i64_e32 vcc, 0, v[0:1]
	v_not_b32_e32 v0, v1
	v_ashrrev_i32_e32 v0, 31, v0
	v_xor_b32_e32 v1, vcc_hi, v0
	v_xor_b32_e32 v0, vcc_lo, v0
	v_and_b32_e32 v0, v6, v0
	v_and_b32_e32 v1, v8, v1
	v_mbcnt_lo_u32_b32 v6, v0, 0
	v_mbcnt_hi_u32_b32 v19, v1, v6
	v_cmp_eq_u32_e32 vcc, 0, v19
	v_cmp_ne_u64_e64 s[0:1], 0, v[0:1]
	s_and_b64 s[2:3], s[0:1], vcc
	s_and_saveexec_b64 s[0:1], s[2:3]
	s_cbranch_execz .LBB0_2
; %bb.1:
	v_bcnt_u32_b32 v0, v0, 0
	v_bcnt_u32_b32 v0, v1, v0
	ds_write_b32 v18, v0 offset:64
.LBB0_2:
	s_or_b64 exec, exec, s[0:1]
	; wave barrier
	s_waitcnt lgkmcnt(0)
	s_barrier
	ds_read2_b32 v[6:7], v10 offset0:16 offset1:17
	ds_read2_b32 v[8:9], v11 offset0:2 offset1:3
	v_and_b32_e32 v1, 16, v13
	v_cmp_eq_u32_e64 s[8:9], 0, v1
	v_and_b32_e32 v1, 63, v4
	v_cmp_eq_u32_e64 s[10:11], 63, v1
	s_waitcnt lgkmcnt(1)
	v_add_u32_e32 v1, v7, v6
	v_and_b32_e32 v0, 15, v13
	s_waitcnt lgkmcnt(0)
	v_add3_u32 v1, v1, v8, v9
	v_cmp_eq_u32_e32 vcc, 0, v0
	v_cmp_lt_u32_e64 s[2:3], 1, v0
	v_mov_b32_dpp v9, v1 row_shr:1 row_mask:0xf bank_mask:0xf
	v_cndmask_b32_e64 v9, v9, 0, vcc
	v_add_u32_e32 v1, v9, v1
	v_cmp_lt_u32_e64 s[4:5], 3, v0
	v_cmp_lt_u32_e64 s[6:7], 7, v0
	v_mov_b32_dpp v9, v1 row_shr:2 row_mask:0xf bank_mask:0xf
	v_cndmask_b32_e64 v9, 0, v9, s[2:3]
	v_add_u32_e32 v1, v1, v9
	v_bfe_i32 v16, v13, 4, 1
	v_cmp_lt_u32_e64 s[18:19], 31, v13
	v_mov_b32_dpp v9, v1 row_shr:4 row_mask:0xf bank_mask:0xf
	v_cndmask_b32_e64 v9, 0, v9, s[4:5]
	v_add_u32_e32 v1, v1, v9
	v_lshlrev_b32_e32 v14, 2, v14
	s_nop 0
	v_mov_b32_dpp v9, v1 row_shr:8 row_mask:0xf bank_mask:0xf
	v_cndmask_b32_e64 v0, 0, v9, s[6:7]
	v_add_u32_e32 v0, v1, v0
	s_nop 1
	v_mov_b32_dpp v1, v0 row_bcast:15 row_mask:0xf bank_mask:0xf
	v_and_b32_e32 v1, v16, v1
	v_add_u32_e32 v0, v0, v1
	s_nop 1
	v_mov_b32_dpp v1, v0 row_bcast:31 row_mask:0xf bank_mask:0xf
	v_cndmask_b32_e64 v1, 0, v1, s[18:19]
	v_add_u32_e32 v1, v0, v1
	s_and_saveexec_b64 s[0:1], s[10:11]
	s_cbranch_execz .LBB0_4
; %bb.3:
	ds_write_b32 v14, v1
.LBB0_4:
	s_or_b64 exec, exec, s[0:1]
	v_cmp_gt_u32_e64 s[14:15], 16, v4
	v_lshlrev_b32_e32 v9, 2, v4
	s_waitcnt lgkmcnt(0)
	s_barrier
	s_and_saveexec_b64 s[0:1], s[14:15]
	s_cbranch_execz .LBB0_6
; %bb.5:
	ds_read_b32 v0, v9
	s_waitcnt lgkmcnt(0)
	s_nop 0
	v_mov_b32_dpp v16, v0 row_shr:1 row_mask:0xf bank_mask:0xf
	v_cndmask_b32_e64 v16, v16, 0, vcc
	v_add_u32_e32 v0, v16, v0
	s_nop 1
	v_mov_b32_dpp v16, v0 row_shr:2 row_mask:0xf bank_mask:0xf
	v_cndmask_b32_e64 v16, 0, v16, s[2:3]
	v_add_u32_e32 v0, v0, v16
	s_nop 1
	v_mov_b32_dpp v16, v0 row_shr:4 row_mask:0xf bank_mask:0xf
	v_cndmask_b32_e64 v16, 0, v16, s[4:5]
	;; [unrolled: 4-line block ×3, first 2 shown]
	v_add_u32_e32 v0, v0, v16
	ds_write_b32 v9, v0
.LBB0_6:
	s_or_b64 exec, exec, s[0:1]
	v_cmp_lt_u32_e64 s[16:17], 63, v4
	v_add_u32_e32 v16, -4, v14
	v_mov_b32_e32 v0, 0
	v_mov_b32_e32 v20, 0
	s_waitcnt lgkmcnt(0)
	s_barrier
	s_and_saveexec_b64 s[0:1], s[16:17]
	s_cbranch_execz .LBB0_8
; %bb.7:
	ds_read_b32 v20, v16
.LBB0_8:
	s_or_b64 exec, exec, s[0:1]
	v_add_u32_e32 v17, -1, v13
	v_and_b32_e32 v21, 64, v13
	v_cmp_lt_i32_e64 s[0:1], v17, v21
	v_cndmask_b32_e64 v17, v17, v13, s[0:1]
	v_lshlrev_b32_e32 v17, 2, v17
	s_waitcnt lgkmcnt(0)
	v_add_u32_e32 v1, v20, v1
	ds_bpermute_b32 v1, v17, v1
	v_cmp_eq_u32_e64 s[20:21], 0, v13
	v_cmp_eq_u32_e64 s[0:1], 0, v4
	v_and_b32_e32 v21, 0x3c0, v4
	v_cmp_ne_u32_e64 s[12:13], 0, v4
	s_waitcnt lgkmcnt(0)
	v_cndmask_b32_e64 v1, v1, v20, s[20:21]
	v_cndmask_b32_e64 v1, v1, 0, s[0:1]
	v_add_u32_e32 v6, v1, v6
	v_add_u32_e32 v7, v6, v7
	;; [unrolled: 1-line block ×3, first 2 shown]
	ds_write2_b32 v10, v1, v6 offset0:16 offset1:17
	ds_write2_b32 v11, v7, v8 offset0:2 offset1:3
	s_waitcnt lgkmcnt(0)
	s_barrier
	ds_read_b32 v1, v18 offset:64
	v_add_lshl_u32 v6, v13, v21, 1
	s_waitcnt lgkmcnt(0)
	s_barrier
	v_add_lshl_u32 v1, v1, v19, 1
	ds_write_b16 v1, v12
	s_waitcnt lgkmcnt(0)
	s_barrier
	ds_read_u16 v8, v6
	v_mov_b32_e32 v1, 4
	s_waitcnt lgkmcnt(0)
	s_barrier
	v_lshlrev_b16_sdwa v1, v1, v8 dst_sel:DWORD dst_unused:UNUSED_PAD src0_sel:DWORD src1_sel:BYTE_1
	v_add_lshl_u32 v12, v15, v1, 2
	v_mov_b32_e32 v1, 1
	v_and_b32_sdwa v1, v8, v1 dst_sel:DWORD dst_unused:UNUSED_PAD src0_sel:BYTE_1 src1_sel:DWORD
	v_add_co_u32_e64 v6, s[22:23], -1, v1
	v_addc_co_u32_e64 v7, s[22:23], 0, -1, s[22:23]
	v_cmp_ne_u32_e64 s[22:23], 0, v1
	v_xor_b32_e32 v1, s23, v7
	v_and_b32_e32 v7, exec_hi, v1
	v_mov_b32_e32 v1, 30
	v_lshlrev_b32_sdwa v1, v1, v8 dst_sel:DWORD dst_unused:UNUSED_PAD src0_sel:DWORD src1_sel:BYTE_1
	v_xor_b32_e32 v6, s22, v6
	v_cmp_gt_i64_e64 s[22:23], 0, v[0:1]
	v_not_b32_e32 v1, v1
	v_ashrrev_i32_e32 v1, 31, v1
	v_and_b32_e32 v6, exec_lo, v6
	v_xor_b32_e32 v13, s23, v1
	v_xor_b32_e32 v1, s22, v1
	v_and_b32_e32 v6, v6, v1
	v_mov_b32_e32 v1, 29
	v_lshlrev_b32_sdwa v1, v1, v8 dst_sel:DWORD dst_unused:UNUSED_PAD src0_sel:DWORD src1_sel:BYTE_1
	v_cmp_gt_i64_e64 s[22:23], 0, v[0:1]
	v_not_b32_e32 v1, v1
	v_ashrrev_i32_e32 v1, 31, v1
	v_and_b32_e32 v7, v7, v13
	v_xor_b32_e32 v13, s23, v1
	v_xor_b32_e32 v1, s22, v1
	v_and_b32_e32 v6, v6, v1
	v_mov_b32_e32 v1, 28
	v_lshlrev_b32_sdwa v1, v1, v8 dst_sel:DWORD dst_unused:UNUSED_PAD src0_sel:DWORD src1_sel:BYTE_1
	v_cmp_gt_i64_e64 s[22:23], 0, v[0:1]
	v_not_b32_e32 v1, v1
	v_ashrrev_i32_e32 v1, 31, v1
	v_and_b32_e32 v7, v7, v13
	;; [unrolled: 9-line block ×5, first 2 shown]
	v_xor_b32_e32 v13, s23, v1
	v_xor_b32_e32 v1, s22, v1
	v_and_b32_e32 v6, v6, v1
	v_mov_b32_e32 v1, 24
	v_lshlrev_b32_sdwa v1, v1, v8 dst_sel:DWORD dst_unused:UNUSED_PAD src0_sel:DWORD src1_sel:BYTE_1
	ds_write2_b32 v10, v0, v0 offset0:16 offset1:17
	ds_write2_b32 v11, v0, v0 offset0:2 offset1:3
	v_cmp_gt_i64_e64 s[22:23], 0, v[0:1]
	v_not_b32_e32 v0, v1
	v_ashrrev_i32_e32 v0, 31, v0
	v_xor_b32_e32 v1, s23, v0
	v_xor_b32_e32 v0, s22, v0
	v_and_b32_e32 v7, v7, v13
	v_and_b32_e32 v0, v6, v0
	v_and_b32_e32 v1, v7, v1
	v_mbcnt_lo_u32_b32 v6, v0, 0
	v_mbcnt_hi_u32_b32 v13, v1, v6
	v_cmp_eq_u32_e64 s[22:23], 0, v13
	v_cmp_ne_u64_e64 s[24:25], 0, v[0:1]
	s_and_b64 s[24:25], s[24:25], s[22:23]
	s_waitcnt lgkmcnt(0)
	s_barrier
	s_waitcnt lgkmcnt(0)
	; wave barrier
	s_and_saveexec_b64 s[22:23], s[24:25]
	s_cbranch_execz .LBB0_10
; %bb.9:
	v_bcnt_u32_b32 v0, v0, 0
	v_bcnt_u32_b32 v0, v1, v0
	ds_write_b32 v12, v0 offset:64
.LBB0_10:
	s_or_b64 exec, exec, s[22:23]
	; wave barrier
	s_waitcnt lgkmcnt(0)
	s_barrier
	ds_read2_b32 v[6:7], v10 offset0:16 offset1:17
	ds_read2_b32 v[0:1], v11 offset0:2 offset1:3
	s_waitcnt lgkmcnt(1)
	v_add_u32_e32 v15, v7, v6
	s_waitcnt lgkmcnt(0)
	v_add3_u32 v1, v15, v0, v1
	s_nop 1
	v_mov_b32_dpp v15, v1 row_shr:1 row_mask:0xf bank_mask:0xf
	v_cndmask_b32_e64 v15, v15, 0, vcc
	v_add_u32_e32 v1, v15, v1
	s_nop 1
	v_mov_b32_dpp v15, v1 row_shr:2 row_mask:0xf bank_mask:0xf
	v_cndmask_b32_e64 v15, 0, v15, s[2:3]
	v_add_u32_e32 v1, v1, v15
	s_nop 1
	v_mov_b32_dpp v15, v1 row_shr:4 row_mask:0xf bank_mask:0xf
	v_cndmask_b32_e64 v15, 0, v15, s[4:5]
	;; [unrolled: 4-line block ×3, first 2 shown]
	v_add_u32_e32 v1, v1, v15
	s_nop 1
	v_mov_b32_dpp v15, v1 row_bcast:15 row_mask:0xf bank_mask:0xf
	v_cndmask_b32_e64 v15, v15, 0, s[8:9]
	v_add_u32_e32 v1, v1, v15
	s_nop 1
	v_mov_b32_dpp v15, v1 row_bcast:31 row_mask:0xf bank_mask:0xf
	v_cndmask_b32_e64 v15, 0, v15, s[18:19]
	v_add_u32_e32 v1, v1, v15
	s_and_saveexec_b64 s[8:9], s[10:11]
	s_cbranch_execz .LBB0_12
; %bb.11:
	ds_write_b32 v14, v1
.LBB0_12:
	s_or_b64 exec, exec, s[8:9]
	s_waitcnt lgkmcnt(0)
	s_barrier
	s_and_saveexec_b64 s[8:9], s[14:15]
	s_cbranch_execz .LBB0_14
; %bb.13:
	ds_read_b32 v14, v9
	s_waitcnt lgkmcnt(0)
	s_nop 0
	v_mov_b32_dpp v15, v14 row_shr:1 row_mask:0xf bank_mask:0xf
	v_cndmask_b32_e64 v15, v15, 0, vcc
	v_add_u32_e32 v14, v15, v14
	s_nop 1
	v_mov_b32_dpp v15, v14 row_shr:2 row_mask:0xf bank_mask:0xf
	v_cndmask_b32_e64 v15, 0, v15, s[2:3]
	v_add_u32_e32 v14, v14, v15
	s_nop 1
	v_mov_b32_dpp v15, v14 row_shr:4 row_mask:0xf bank_mask:0xf
	v_cndmask_b32_e64 v15, 0, v15, s[4:5]
	v_add_u32_e32 v14, v14, v15
	s_nop 1
	v_mov_b32_dpp v15, v14 row_shr:8 row_mask:0xf bank_mask:0xf
	v_cndmask_b32_e64 v15, 0, v15, s[6:7]
	v_add_u32_e32 v14, v14, v15
	ds_write_b32 v9, v14
.LBB0_14:
	s_or_b64 exec, exec, s[8:9]
	v_mov_b32_e32 v14, 0
	s_waitcnt lgkmcnt(0)
	s_barrier
	s_and_saveexec_b64 s[2:3], s[16:17]
	s_cbranch_execz .LBB0_16
; %bb.15:
	ds_read_b32 v14, v16
.LBB0_16:
	s_or_b64 exec, exec, s[2:3]
	s_waitcnt lgkmcnt(0)
	v_add_u32_e32 v1, v14, v1
	ds_bpermute_b32 v1, v17, v1
	s_waitcnt lgkmcnt(0)
	v_cndmask_b32_e64 v1, v1, v14, s[20:21]
	v_cndmask_b32_e64 v1, v1, 0, s[0:1]
	v_add_u32_e32 v6, v1, v6
	v_add_u32_e32 v7, v6, v7
	;; [unrolled: 1-line block ×3, first 2 shown]
	ds_write2_b32 v10, v1, v6 offset0:16 offset1:17
	ds_write2_b32 v11, v7, v0 offset0:2 offset1:3
	s_waitcnt lgkmcnt(0)
	s_barrier
	ds_read_b32 v0, v12 offset:64
	s_waitcnt lgkmcnt(0)
	s_barrier
	v_mov_b32_e32 v1, 0x400
	v_add_lshl_u32 v0, v0, v13, 1
	ds_write_b16 v0, v8
	s_waitcnt lgkmcnt(0)
	s_barrier
	ds_read_u16 v0, v5
	s_waitcnt lgkmcnt(0)
	s_barrier
	ds_write2st64_b32 v9, v1, v1 offset0:16 offset1:32
	s_waitcnt lgkmcnt(0)
	s_barrier
	ds_write_b16 v5, v0
	s_waitcnt lgkmcnt(0)
	s_barrier
	s_and_saveexec_b64 s[2:3], s[12:13]
	s_cbranch_execz .LBB0_19
; %bb.17:
	v_add_u32_e32 v1, -2, v5
	ds_read_u16 v1, v1
	s_waitcnt lgkmcnt(0)
	v_cmp_ne_u16_e32 vcc, v1, v0
	s_and_b64 exec, exec, vcc
	s_cbranch_execz .LBB0_19
; %bb.18:
	v_mov_b32_e32 v6, 2
	v_lshlrev_b32_sdwa v7, v6, v0 dst_sel:DWORD dst_unused:UNUSED_PAD src0_sel:DWORD src1_sel:WORD_0
	v_lshlrev_b32_sdwa v1, v6, v1 dst_sel:DWORD dst_unused:UNUSED_PAD src0_sel:DWORD src1_sel:WORD_0
	ds_write_b32 v7, v4 offset:4096
	ds_write_b32 v1, v4 offset:8192
.LBB0_19:
	s_or_b64 exec, exec, s[2:3]
	v_add_u32_e32 v1, 0x4040, v5
	s_waitcnt lgkmcnt(0)
	s_barrier
	s_and_saveexec_b64 s[2:3], s[0:1]
	s_cbranch_execz .LBB0_21
; %bb.20:
	v_mov_b32_e32 v4, 2
	v_lshlrev_b32_sdwa v0, v4, v0 dst_sel:DWORD dst_unused:UNUSED_PAD src0_sel:DWORD src1_sel:WORD_0
	v_mov_b32_e32 v4, 0
	ds_write_b32 v0, v4 offset:4096
.LBB0_21:
	s_or_b64 exec, exec, s[2:3]
	s_waitcnt lgkmcnt(0)
	s_barrier
	ds_read2st64_b32 v[4:5], v9 offset0:16 offset1:32
	ds_read_u16 v0, v1
	s_waitcnt lgkmcnt(1)
	v_sub_u32_e32 v4, v5, v4
	s_waitcnt lgkmcnt(0)
	v_add_u16_e32 v0, v0, v4
	ds_write_b16 v1, v0
	s_waitcnt lgkmcnt(0)
	s_barrier
	ds_read_u16 v4, v1
	v_mov_b32_e32 v1, s27
	v_add_co_u32_e32 v0, vcc, s26, v2
	v_addc_co_u32_e32 v1, vcc, v1, v3, vcc
	s_waitcnt lgkmcnt(0)
	global_store_short v[0:1], v4, off
	s_endpgm
	.section	.rodata,"a",@progbits
	.p2align	6, 0x0
	.amdhsa_kernel _Z16histogram_kernelILj1024ELj1ELj1024ELN6hipcub23BlockHistogramAlgorithmE1EtEvPT3_S3_
		.amdhsa_group_segment_fixed_size 18496
		.amdhsa_private_segment_fixed_size 0
		.amdhsa_kernarg_size 272
		.amdhsa_user_sgpr_count 6
		.amdhsa_user_sgpr_private_segment_buffer 1
		.amdhsa_user_sgpr_dispatch_ptr 0
		.amdhsa_user_sgpr_queue_ptr 0
		.amdhsa_user_sgpr_kernarg_segment_ptr 1
		.amdhsa_user_sgpr_dispatch_id 0
		.amdhsa_user_sgpr_flat_scratch_init 0
		.amdhsa_user_sgpr_kernarg_preload_length 0
		.amdhsa_user_sgpr_kernarg_preload_offset 0
		.amdhsa_user_sgpr_private_segment_size 0
		.amdhsa_uses_dynamic_stack 0
		.amdhsa_system_sgpr_private_segment_wavefront_offset 0
		.amdhsa_system_sgpr_workgroup_id_x 1
		.amdhsa_system_sgpr_workgroup_id_y 0
		.amdhsa_system_sgpr_workgroup_id_z 0
		.amdhsa_system_sgpr_workgroup_info 0
		.amdhsa_system_vgpr_workitem_id 2
		.amdhsa_next_free_vgpr 26
		.amdhsa_next_free_sgpr 28
		.amdhsa_accum_offset 28
		.amdhsa_reserve_vcc 1
		.amdhsa_reserve_flat_scratch 0
		.amdhsa_float_round_mode_32 0
		.amdhsa_float_round_mode_16_64 0
		.amdhsa_float_denorm_mode_32 3
		.amdhsa_float_denorm_mode_16_64 3
		.amdhsa_dx10_clamp 1
		.amdhsa_ieee_mode 1
		.amdhsa_fp16_overflow 0
		.amdhsa_tg_split 0
		.amdhsa_exception_fp_ieee_invalid_op 0
		.amdhsa_exception_fp_denorm_src 0
		.amdhsa_exception_fp_ieee_div_zero 0
		.amdhsa_exception_fp_ieee_overflow 0
		.amdhsa_exception_fp_ieee_underflow 0
		.amdhsa_exception_fp_ieee_inexact 0
		.amdhsa_exception_int_div_zero 0
	.end_amdhsa_kernel
	.section	.text._Z16histogram_kernelILj1024ELj1ELj1024ELN6hipcub23BlockHistogramAlgorithmE1EtEvPT3_S3_,"axG",@progbits,_Z16histogram_kernelILj1024ELj1ELj1024ELN6hipcub23BlockHistogramAlgorithmE1EtEvPT3_S3_,comdat
.Lfunc_end0:
	.size	_Z16histogram_kernelILj1024ELj1ELj1024ELN6hipcub23BlockHistogramAlgorithmE1EtEvPT3_S3_, .Lfunc_end0-_Z16histogram_kernelILj1024ELj1ELj1024ELN6hipcub23BlockHistogramAlgorithmE1EtEvPT3_S3_
                                        ; -- End function
	.section	.AMDGPU.csdata,"",@progbits
; Kernel info:
; codeLenInByte = 2496
; NumSgprs: 32
; NumVgprs: 26
; NumAgprs: 0
; TotalNumVgprs: 26
; ScratchSize: 0
; MemoryBound: 0
; FloatMode: 240
; IeeeMode: 1
; LDSByteSize: 18496 bytes/workgroup (compile time only)
; SGPRBlocks: 3
; VGPRBlocks: 3
; NumSGPRsForWavesPerEU: 32
; NumVGPRsForWavesPerEU: 26
; AccumOffset: 28
; Occupancy: 8
; WaveLimiterHint : 0
; COMPUTE_PGM_RSRC2:SCRATCH_EN: 0
; COMPUTE_PGM_RSRC2:USER_SGPR: 6
; COMPUTE_PGM_RSRC2:TRAP_HANDLER: 0
; COMPUTE_PGM_RSRC2:TGID_X_EN: 1
; COMPUTE_PGM_RSRC2:TGID_Y_EN: 0
; COMPUTE_PGM_RSRC2:TGID_Z_EN: 0
; COMPUTE_PGM_RSRC2:TIDIG_COMP_CNT: 2
; COMPUTE_PGM_RSRC3_GFX90A:ACCUM_OFFSET: 6
; COMPUTE_PGM_RSRC3_GFX90A:TG_SPLIT: 0
	.section	.text._Z16histogram_kernelILj512ELj4ELj512ELN6hipcub23BlockHistogramAlgorithmE1EtEvPT3_S3_,"axG",@progbits,_Z16histogram_kernelILj512ELj4ELj512ELN6hipcub23BlockHistogramAlgorithmE1EtEvPT3_S3_,comdat
	.protected	_Z16histogram_kernelILj512ELj4ELj512ELN6hipcub23BlockHistogramAlgorithmE1EtEvPT3_S3_ ; -- Begin function _Z16histogram_kernelILj512ELj4ELj512ELN6hipcub23BlockHistogramAlgorithmE1EtEvPT3_S3_
	.globl	_Z16histogram_kernelILj512ELj4ELj512ELN6hipcub23BlockHistogramAlgorithmE1EtEvPT3_S3_
	.p2align	8
	.type	_Z16histogram_kernelILj512ELj4ELj512ELN6hipcub23BlockHistogramAlgorithmE1EtEvPT3_S3_,@function
_Z16histogram_kernelILj512ELj4ELj512ELN6hipcub23BlockHistogramAlgorithmE1EtEvPT3_S3_: ; @_Z16histogram_kernelILj512ELj4ELj512ELN6hipcub23BlockHistogramAlgorithmE1EtEvPT3_S3_
; %bb.0:
	s_load_dwordx4 s[36:39], s[4:5], 0x0
	v_and_b32_e32 v2, 0x3ff, v0
	v_lshlrev_b32_e32 v8, 2, v2
	v_mov_b32_e32 v4, 0
	v_lshl_or_b32 v6, s6, 11, v8
	v_mov_b32_e32 v7, v4
	v_lshlrev_b64 v[6:7], 1, v[6:7]
	s_waitcnt lgkmcnt(0)
	v_mov_b32_e32 v1, s37
	v_add_co_u32_e32 v6, vcc, s36, v6
	v_addc_co_u32_e32 v7, vcc, v1, v7, vcc
	global_load_dwordx2 v[6:7], v[6:7], off
	s_movk_i32 s0, 0x200
	v_cmp_gt_u32_e32 vcc, s0, v2
	v_lshlrev_b32_e32 v3, 1, v2
	s_and_saveexec_b64 s[0:1], vcc
	s_cbranch_execz .LBB1_2
; %bb.1:
	ds_write_b16 v3, v4 offset:8224
.LBB1_2:
	s_or_b64 exec, exec, s[0:1]
	v_mbcnt_lo_u32_b32 v9, -1, 0
	v_mbcnt_hi_u32_b32 v12, -1, v9
	v_lshrrev_b32_e32 v9, 2, v12
	v_and_b32_e32 v13, 64, v12
	v_or_b32_e32 v10, v9, v13
	s_waitcnt vmcnt(0)
	v_lshrrev_b32_e32 v1, 16, v6
	v_and_b32_e32 v6, 0xffff, v6
	v_lshlrev_b32_e32 v10, 2, v10
	v_lshrrev_b32_e32 v5, 16, v7
	v_and_b32_e32 v7, 0xffff, v7
	ds_bpermute_b32 v11, v10, v6
	ds_bpermute_b32 v14, v10, v1
	;; [unrolled: 1-line block ×3, first 2 shown]
	v_and_b32_e32 v16, 3, v12
	ds_bpermute_b32 v17, v10, v5
	v_cmp_eq_u32_e64 s[0:1], 1, v16
	s_mov_b32 s7, 0xffff
	s_waitcnt lgkmcnt(2)
	v_cndmask_b32_e64 v11, v11, v14, s[0:1]
	s_waitcnt lgkmcnt(1)
	v_bfi_b32 v14, s7, v15, v11
	v_cmp_eq_u32_e64 s[2:3], 2, v16
	v_cndmask_b32_e64 v11, v11, v14, s[2:3]
	ds_bpermute_b32 v15, v10, v6 offset:64
	s_waitcnt lgkmcnt(1)
	v_bfi_b32 v14, s7, v17, v11
	v_cmp_eq_u32_e64 s[8:9], 3, v16
	v_cndmask_b32_e64 v11, v11, v14, s[8:9]
	ds_bpermute_b32 v14, v10, v1 offset:64
	s_mov_b32 s12, 0x5040100
	ds_bpermute_b32 v17, v10, v7 offset:64
	s_waitcnt lgkmcnt(2)
	v_perm_b32 v15, v15, v11, s12
	v_cmp_eq_u32_e64 s[10:11], 0, v16
	v_cndmask_b32_e64 v11, v11, v15, s[10:11]
	s_waitcnt lgkmcnt(1)
	v_perm_b32 v14, v14, v11, s12
	v_cndmask_b32_e64 v11, v11, v14, s[0:1]
	ds_bpermute_b32 v14, v10, v5 offset:64
	s_waitcnt lgkmcnt(1)
	v_perm_b32 v15, v17, v11, s12
	v_cndmask_b32_e64 v11, v11, v15, s[2:3]
	ds_bpermute_b32 v15, v10, v6 offset:128
	ds_bpermute_b32 v16, v10, v1 offset:128
	;; [unrolled: 1-line block ×3, first 2 shown]
	v_add_u32_e32 v9, 48, v9
	s_waitcnt lgkmcnt(3)
	v_perm_b32 v14, v14, v11, s12
	ds_bpermute_b32 v10, v10, v5 offset:128
	v_and_or_b32 v9, v9, 63, v13
	v_cndmask_b32_e64 v14, v11, v14, s[8:9]
	s_waitcnt lgkmcnt(3)
	v_and_b32_e32 v11, 0xffff, v15
	s_waitcnt lgkmcnt(2)
	v_and_b32_e32 v15, 0xffff, v16
	v_lshlrev_b32_e32 v9, 2, v9
	v_cndmask_b32_e64 v11, v11, v15, s[0:1]
	ds_bpermute_b32 v6, v9, v6
	s_waitcnt lgkmcnt(2)
	v_bfi_b32 v15, s7, v17, v11
	v_cndmask_b32_e64 v11, v11, v15, s[2:3]
	ds_bpermute_b32 v1, v9, v1
	s_waitcnt lgkmcnt(2)
	v_bfi_b32 v10, s7, v10, v11
	v_cndmask_b32_e64 v10, v11, v10, s[8:9]
	s_waitcnt lgkmcnt(1)
	v_perm_b32 v6, v6, v10, s12
	v_cndmask_b32_e64 v6, v10, v6, s[10:11]
	s_waitcnt lgkmcnt(0)
	v_perm_b32 v1, v1, v6, s12
	v_cndmask_b32_e64 v1, v6, v1, s[0:1]
	ds_bpermute_b32 v6, v9, v7
	ds_bpermute_b32 v5, v9, v5
	s_waitcnt lgkmcnt(0)
	s_barrier
	s_barrier
	s_load_dword s0, s[4:5], 0x1c
	v_perm_b32 v6, v6, v1, s12
	v_cndmask_b32_e64 v1, v1, v6, s[2:3]
	v_perm_b32 v5, v5, v1, s12
	v_cndmask_b32_e64 v16, v1, v5, s[8:9]
	s_waitcnt lgkmcnt(0)
	s_lshr_b32 s1, s0, 16
	v_bfe_u32 v1, v0, 10, 10
	v_bfe_u32 v0, v0, 20, 10
	s_and_b32 s0, s0, 0xffff
	v_mad_u32_u24 v0, v0, s1, v1
	v_mad_u64_u32 v[0:1], s[0:1], v0, s0, v[2:3]
	v_mov_b32_e32 v6, 3
	v_lshrrev_b32_e32 v10, 6, v0
	v_lshlrev_b16_sdwa v0, v6, v14 dst_sel:DWORD dst_unused:UNUSED_PAD src0_sel:DWORD src1_sel:BYTE_0
	v_add_lshl_u32 v17, v10, v0, 2
	v_and_b32_e32 v0, 1, v14
	v_add_co_u32_e64 v1, s[0:1], -1, v0
	v_addc_co_u32_e64 v5, s[0:1], 0, -1, s[0:1]
	v_cmp_ne_u32_e64 s[0:1], 0, v0
	v_xor_b32_e32 v0, s1, v5
	v_lshlrev_b32_e32 v5, 30, v14
	v_xor_b32_e32 v1, s0, v1
	v_cmp_gt_i64_e64 s[0:1], 0, v[4:5]
	v_not_b32_e32 v5, v5
	v_ashrrev_i32_e32 v5, 31, v5
	v_and_b32_e32 v1, exec_lo, v1
	v_xor_b32_e32 v7, s1, v5
	v_xor_b32_e32 v5, s0, v5
	v_and_b32_e32 v1, v1, v5
	v_lshlrev_b32_e32 v5, 29, v14
	v_cmp_gt_i64_e64 s[0:1], 0, v[4:5]
	v_not_b32_e32 v5, v5
	v_and_b32_e32 v0, exec_hi, v0
	v_ashrrev_i32_e32 v5, 31, v5
	v_and_b32_e32 v0, v0, v7
	v_xor_b32_e32 v7, s1, v5
	v_xor_b32_e32 v5, s0, v5
	v_and_b32_e32 v1, v1, v5
	v_lshlrev_b32_e32 v5, 28, v14
	v_cmp_gt_i64_e64 s[0:1], 0, v[4:5]
	v_not_b32_e32 v5, v5
	v_ashrrev_i32_e32 v5, 31, v5
	v_and_b32_e32 v0, v0, v7
	v_xor_b32_e32 v7, s1, v5
	v_xor_b32_e32 v5, s0, v5
	v_and_b32_e32 v1, v1, v5
	v_lshlrev_b32_e32 v5, 27, v14
	v_cmp_gt_i64_e64 s[0:1], 0, v[4:5]
	v_not_b32_e32 v5, v5
	;; [unrolled: 8-line block ×4, first 2 shown]
	v_ashrrev_i32_e32 v5, 31, v5
	v_and_b32_e32 v0, v0, v7
	v_xor_b32_e32 v7, s1, v5
	v_xor_b32_e32 v5, s0, v5
	v_and_b32_e32 v0, v0, v7
	v_and_b32_e32 v7, v1, v5
	v_lshlrev_b32_e32 v5, 24, v14
	v_not_b32_e32 v1, v5
	v_lshlrev_b32_e32 v9, 2, v8
	v_cmp_gt_i64_e64 s[0:1], 0, v[4:5]
	v_ashrrev_i32_e32 v1, 31, v1
	ds_write2_b32 v9, v4, v4 offset0:8 offset1:9
	ds_write2_b32 v9, v4, v4 offset0:10 offset1:11
	v_xor_b32_e32 v4, s1, v1
	v_xor_b32_e32 v5, s0, v1
	v_and_b32_e32 v1, v0, v4
	v_and_b32_e32 v0, v7, v5
	v_mbcnt_lo_u32_b32 v4, v0, 0
	v_mbcnt_hi_u32_b32 v18, v1, v4
	v_cmp_eq_u32_e64 s[0:1], 0, v18
	v_cmp_ne_u64_e64 s[2:3], 0, v[0:1]
	s_and_b64 s[2:3], s[0:1], s[2:3]
	s_waitcnt lgkmcnt(0)
	s_barrier
	s_waitcnt lgkmcnt(0)
	; wave barrier
	s_and_saveexec_b64 s[0:1], s[2:3]
	s_cbranch_execz .LBB1_4
; %bb.3:
	v_bcnt_u32_b32 v0, v0, 0
	v_bcnt_u32_b32 v0, v1, v0
	ds_write_b32 v17, v0 offset:32
.LBB1_4:
	s_or_b64 exec, exec, s[0:1]
	v_bfe_u32 v1, v14, 16, 1
	v_add_co_u32_e64 v4, s[0:1], -1, v1
	v_addc_co_u32_e64 v5, s[0:1], 0, -1, s[0:1]
	v_lshrrev_b32_e32 v19, 16, v14
	v_cmp_ne_u32_e64 s[0:1], 0, v1
	v_lshlrev_b16_sdwa v0, v6, v19 dst_sel:DWORD dst_unused:UNUSED_PAD src0_sel:DWORD src1_sel:BYTE_0
	v_xor_b32_e32 v1, s1, v5
	v_add_lshl_u32 v20, v10, v0, 2
	v_mov_b32_e32 v0, 0
	v_and_b32_e32 v5, exec_hi, v1
	v_lshlrev_b32_e32 v1, 30, v19
	v_xor_b32_e32 v4, s0, v4
	v_cmp_gt_i64_e64 s[0:1], 0, v[0:1]
	v_not_b32_e32 v1, v1
	v_ashrrev_i32_e32 v1, 31, v1
	v_and_b32_e32 v4, exec_lo, v4
	v_xor_b32_e32 v6, s1, v1
	v_xor_b32_e32 v1, s0, v1
	v_and_b32_e32 v4, v4, v1
	v_lshlrev_b32_e32 v1, 29, v19
	v_cmp_gt_i64_e64 s[0:1], 0, v[0:1]
	v_not_b32_e32 v1, v1
	v_ashrrev_i32_e32 v1, 31, v1
	v_and_b32_e32 v5, v5, v6
	v_xor_b32_e32 v6, s1, v1
	v_xor_b32_e32 v1, s0, v1
	v_and_b32_e32 v4, v4, v1
	v_lshlrev_b32_e32 v1, 28, v19
	v_cmp_gt_i64_e64 s[0:1], 0, v[0:1]
	v_not_b32_e32 v1, v1
	v_ashrrev_i32_e32 v1, 31, v1
	v_and_b32_e32 v5, v5, v6
	;; [unrolled: 8-line block ×6, first 2 shown]
	v_xor_b32_e32 v6, s1, v1
	v_xor_b32_e32 v1, s0, v1
	; wave barrier
	ds_read_b32 v21, v20 offset:32
	v_and_b32_e32 v4, v4, v1
	v_and_b32_e32 v5, v5, v6
	v_mbcnt_lo_u32_b32 v1, v4, 0
	v_mbcnt_hi_u32_b32 v22, v5, v1
	v_cmp_eq_u32_e64 s[0:1], 0, v22
	v_cmp_ne_u64_e64 s[2:3], 0, v[4:5]
	s_and_b64 s[2:3], s[2:3], s[0:1]
	; wave barrier
	s_and_saveexec_b64 s[0:1], s[2:3]
	s_cbranch_execz .LBB1_6
; %bb.5:
	v_bcnt_u32_b32 v1, v4, 0
	v_bcnt_u32_b32 v1, v5, v1
	s_waitcnt lgkmcnt(0)
	v_add_u32_e32 v1, v21, v1
	ds_write_b32 v20, v1 offset:32
.LBB1_6:
	s_or_b64 exec, exec, s[0:1]
	v_mov_b32_e32 v4, 3
	v_lshlrev_b16_sdwa v1, v4, v16 dst_sel:DWORD dst_unused:UNUSED_PAD src0_sel:DWORD src1_sel:BYTE_0
	v_add_lshl_u32 v23, v10, v1, 2
	v_and_b32_e32 v1, 1, v16
	v_add_co_u32_e64 v6, s[0:1], -1, v1
	v_addc_co_u32_e64 v7, s[0:1], 0, -1, s[0:1]
	v_cmp_ne_u32_e64 s[0:1], 0, v1
	v_xor_b32_e32 v1, s1, v7
	v_and_b32_e32 v7, exec_hi, v1
	v_lshlrev_b32_e32 v1, 30, v16
	v_xor_b32_e32 v6, s0, v6
	v_cmp_gt_i64_e64 s[0:1], 0, v[0:1]
	v_not_b32_e32 v1, v1
	v_ashrrev_i32_e32 v1, 31, v1
	v_and_b32_e32 v6, exec_lo, v6
	v_xor_b32_e32 v11, s1, v1
	v_xor_b32_e32 v1, s0, v1
	v_and_b32_e32 v6, v6, v1
	v_lshlrev_b32_e32 v1, 29, v16
	v_cmp_gt_i64_e64 s[0:1], 0, v[0:1]
	v_not_b32_e32 v1, v1
	v_ashrrev_i32_e32 v1, 31, v1
	v_and_b32_e32 v7, v7, v11
	v_xor_b32_e32 v11, s1, v1
	v_xor_b32_e32 v1, s0, v1
	v_and_b32_e32 v6, v6, v1
	v_lshlrev_b32_e32 v1, 28, v16
	v_cmp_gt_i64_e64 s[0:1], 0, v[0:1]
	v_not_b32_e32 v1, v1
	v_ashrrev_i32_e32 v1, 31, v1
	v_and_b32_e32 v7, v7, v11
	;; [unrolled: 8-line block ×5, first 2 shown]
	v_xor_b32_e32 v11, s1, v1
	v_xor_b32_e32 v1, s0, v1
	v_and_b32_e32 v6, v6, v1
	v_lshlrev_b32_e32 v1, 24, v16
	v_cmp_gt_i64_e64 s[0:1], 0, v[0:1]
	v_not_b32_e32 v0, v1
	v_ashrrev_i32_e32 v0, 31, v0
	v_xor_b32_e32 v1, s1, v0
	v_xor_b32_e32 v0, s0, v0
	; wave barrier
	ds_read_b32 v24, v23 offset:32
	v_and_b32_e32 v7, v7, v11
	v_and_b32_e32 v0, v6, v0
	;; [unrolled: 1-line block ×3, first 2 shown]
	v_mbcnt_lo_u32_b32 v6, v0, 0
	v_mbcnt_hi_u32_b32 v27, v1, v6
	v_cmp_eq_u32_e64 s[0:1], 0, v27
	v_cmp_ne_u64_e64 s[2:3], 0, v[0:1]
	v_and_b32_e32 v5, 0x3c0, v2
	s_and_b64 s[2:3], s[2:3], s[0:1]
	; wave barrier
	s_and_saveexec_b64 s[0:1], s[2:3]
	s_cbranch_execz .LBB1_8
; %bb.7:
	v_bcnt_u32_b32 v0, v0, 0
	v_bcnt_u32_b32 v0, v1, v0
	s_waitcnt lgkmcnt(0)
	v_add_u32_e32 v0, v24, v0
	ds_write_b32 v23, v0 offset:32
.LBB1_8:
	s_or_b64 exec, exec, s[0:1]
	v_lshrrev_b32_e32 v25, 16, v16
	v_bfe_u32 v1, v16, 16, 1
	v_lshlrev_b16_sdwa v0, v4, v25 dst_sel:DWORD dst_unused:UNUSED_PAD src0_sel:DWORD src1_sel:BYTE_0
	v_add_co_u32_e64 v4, s[0:1], -1, v1
	v_min_u32_e32 v29, 0x1c0, v5
	v_addc_co_u32_e64 v5, s[0:1], 0, -1, s[0:1]
	v_cmp_ne_u32_e64 s[0:1], 0, v1
	v_xor_b32_e32 v1, s1, v5
	v_add_lshl_u32 v26, v10, v0, 2
	v_mov_b32_e32 v0, 0
	v_and_b32_e32 v5, exec_hi, v1
	v_lshlrev_b32_e32 v1, 30, v25
	v_xor_b32_e32 v4, s0, v4
	v_cmp_gt_i64_e64 s[0:1], 0, v[0:1]
	v_not_b32_e32 v1, v1
	v_ashrrev_i32_e32 v1, 31, v1
	v_and_b32_e32 v4, exec_lo, v4
	v_xor_b32_e32 v6, s1, v1
	v_xor_b32_e32 v1, s0, v1
	v_and_b32_e32 v4, v4, v1
	v_lshlrev_b32_e32 v1, 29, v25
	v_cmp_gt_i64_e64 s[0:1], 0, v[0:1]
	v_not_b32_e32 v1, v1
	v_ashrrev_i32_e32 v1, 31, v1
	v_and_b32_e32 v5, v5, v6
	v_xor_b32_e32 v6, s1, v1
	v_xor_b32_e32 v1, s0, v1
	v_and_b32_e32 v4, v4, v1
	v_lshlrev_b32_e32 v1, 28, v25
	v_cmp_gt_i64_e64 s[0:1], 0, v[0:1]
	v_not_b32_e32 v1, v1
	v_ashrrev_i32_e32 v1, 31, v1
	v_and_b32_e32 v5, v5, v6
	v_xor_b32_e32 v6, s1, v1
	v_xor_b32_e32 v1, s0, v1
	v_and_b32_e32 v4, v4, v1
	v_lshlrev_b32_e32 v1, 27, v25
	v_cmp_gt_i64_e64 s[0:1], 0, v[0:1]
	v_not_b32_e32 v1, v1
	v_ashrrev_i32_e32 v1, 31, v1
	v_and_b32_e32 v5, v5, v6
	v_xor_b32_e32 v6, s1, v1
	v_xor_b32_e32 v1, s0, v1
	v_and_b32_e32 v4, v4, v1
	v_lshlrev_b32_e32 v1, 26, v25
	v_cmp_gt_i64_e64 s[0:1], 0, v[0:1]
	v_not_b32_e32 v1, v1
	v_ashrrev_i32_e32 v1, 31, v1
	v_and_b32_e32 v5, v5, v6
	v_xor_b32_e32 v6, s1, v1
	v_xor_b32_e32 v1, s0, v1
	v_and_b32_e32 v4, v4, v1
	v_lshlrev_b32_e32 v1, 25, v25
	v_cmp_gt_i64_e64 s[0:1], 0, v[0:1]
	v_not_b32_e32 v1, v1
	v_ashrrev_i32_e32 v1, 31, v1
	v_and_b32_e32 v5, v5, v6
	v_xor_b32_e32 v6, s1, v1
	v_xor_b32_e32 v1, s0, v1
	v_and_b32_e32 v4, v4, v1
	v_lshlrev_b32_e32 v1, 24, v25
	v_cmp_gt_i64_e64 s[0:1], 0, v[0:1]
	v_not_b32_e32 v0, v1
	v_ashrrev_i32_e32 v0, 31, v0
	v_xor_b32_e32 v1, s1, v0
	v_xor_b32_e32 v0, s0, v0
	; wave barrier
	ds_read_b32 v28, v26 offset:32
	v_and_b32_e32 v5, v5, v6
	v_and_b32_e32 v0, v4, v0
	;; [unrolled: 1-line block ×3, first 2 shown]
	v_mbcnt_lo_u32_b32 v4, v0, 0
	v_mbcnt_hi_u32_b32 v30, v1, v4
	v_cmp_eq_u32_e64 s[0:1], 0, v30
	v_cmp_ne_u64_e64 s[2:3], 0, v[0:1]
	v_add_u32_e32 v11, 32, v9
	v_lshrrev_b32_e32 v15, 6, v2
	s_and_b64 s[2:3], s[2:3], s[0:1]
	; wave barrier
	s_and_saveexec_b64 s[0:1], s[2:3]
	s_cbranch_execz .LBB1_10
; %bb.9:
	v_bcnt_u32_b32 v0, v0, 0
	v_bcnt_u32_b32 v0, v1, v0
	s_waitcnt lgkmcnt(0)
	v_add_u32_e32 v0, v28, v0
	ds_write_b32 v26, v0 offset:32
.LBB1_10:
	s_or_b64 exec, exec, s[0:1]
	; wave barrier
	s_waitcnt lgkmcnt(0)
	s_barrier
	ds_read2_b32 v[4:5], v9 offset0:8 offset1:9
	ds_read2_b32 v[6:7], v11 offset0:2 offset1:3
	v_and_b32_e32 v1, 16, v12
	v_cmp_eq_u32_e64 s[4:5], 0, v1
	v_or_b32_e32 v1, 63, v29
	v_cmp_eq_u32_e64 s[30:31], v1, v2
	s_waitcnt lgkmcnt(1)
	v_add_u32_e32 v1, v5, v4
	v_and_b32_e32 v0, 15, v12
	s_waitcnt lgkmcnt(0)
	v_add3_u32 v1, v1, v6, v7
	v_cmp_eq_u32_e64 s[14:15], 0, v0
	v_cmp_lt_u32_e64 s[16:17], 1, v0
	v_mov_b32_dpp v7, v1 row_shr:1 row_mask:0xf bank_mask:0xf
	v_cndmask_b32_e64 v7, v7, 0, s[14:15]
	v_add_u32_e32 v1, v7, v1
	v_cmp_lt_u32_e64 s[18:19], 3, v0
	v_cmp_lt_u32_e64 s[22:23], 7, v0
	v_mov_b32_dpp v7, v1 row_shr:2 row_mask:0xf bank_mask:0xf
	v_cndmask_b32_e64 v7, 0, v7, s[16:17]
	v_add_u32_e32 v1, v1, v7
	v_bfe_i32 v31, v12, 4, 1
	v_cmp_lt_u32_e64 s[24:25], 31, v12
	v_mov_b32_dpp v7, v1 row_shr:4 row_mask:0xf bank_mask:0xf
	v_cndmask_b32_e64 v7, 0, v7, s[18:19]
	v_add_u32_e32 v1, v1, v7
	v_lshlrev_b32_e32 v15, 2, v15
	s_nop 0
	v_mov_b32_dpp v7, v1 row_shr:8 row_mask:0xf bank_mask:0xf
	v_cndmask_b32_e64 v0, 0, v7, s[22:23]
	v_add_u32_e32 v0, v1, v0
	s_nop 1
	v_mov_b32_dpp v1, v0 row_bcast:15 row_mask:0xf bank_mask:0xf
	v_and_b32_e32 v1, v31, v1
	v_add_u32_e32 v0, v0, v1
	s_nop 1
	v_mov_b32_dpp v1, v0 row_bcast:31 row_mask:0xf bank_mask:0xf
	v_cndmask_b32_e64 v1, 0, v1, s[24:25]
	v_add_u32_e32 v1, v0, v1
	s_and_saveexec_b64 s[0:1], s[30:31]
	s_cbranch_execz .LBB1_12
; %bb.11:
	ds_write_b32 v15, v1
.LBB1_12:
	s_or_b64 exec, exec, s[0:1]
	v_and_b32_e32 v0, 7, v12
	s_movk_i32 s2, 0xf00
	v_cmp_gt_u32_e64 s[20:21], 8, v2
	v_cmp_eq_u32_e64 s[12:13], 0, v0
	v_cmp_lt_u32_e64 s[10:11], 1, v0
	v_cmp_lt_u32_e64 s[8:9], 3, v0
	s_waitcnt lgkmcnt(0)
	s_barrier
	s_and_saveexec_b64 s[0:1], s[20:21]
	s_cbranch_execz .LBB1_14
; %bb.13:
	ds_read_b32 v0, v8
	s_waitcnt lgkmcnt(0)
	s_nop 0
	v_mov_b32_dpp v7, v0 row_shr:1 row_mask:0xf bank_mask:0xf
	v_cndmask_b32_e64 v7, v7, 0, s[12:13]
	v_add_u32_e32 v0, v7, v0
	s_nop 1
	v_mov_b32_dpp v7, v0 row_shr:2 row_mask:0xf bank_mask:0xf
	v_cndmask_b32_e64 v7, 0, v7, s[10:11]
	v_add_u32_e32 v0, v0, v7
	;; [unrolled: 4-line block ×3, first 2 shown]
	ds_write_b32 v8, v0
.LBB1_14:
	s_or_b64 exec, exec, s[0:1]
	v_and_or_b32 v29, v8, s2, v12
	v_cmp_lt_u32_e64 s[26:27], 63, v2
	v_add_u32_e32 v7, -4, v15
	v_mov_b32_e32 v0, 0
	v_mov_b32_e32 v31, 0
	s_waitcnt lgkmcnt(0)
	s_barrier
	s_and_saveexec_b64 s[0:1], s[26:27]
	s_cbranch_execz .LBB1_16
; %bb.15:
	ds_read_b32 v31, v7
.LBB1_16:
	s_or_b64 exec, exec, s[0:1]
	v_add_u32_e32 v24, v27, v24
	v_add_u32_e32 v27, -1, v12
	v_cmp_lt_i32_e64 s[0:1], v27, v13
	v_cndmask_b32_e64 v13, v27, v12, s[0:1]
	v_lshlrev_b32_e32 v13, 2, v13
	s_waitcnt lgkmcnt(0)
	v_add_u32_e32 v1, v31, v1
	ds_bpermute_b32 v1, v13, v1
	v_cmp_eq_u32_e64 s[28:29], 0, v12
	v_cmp_eq_u32_e64 s[0:1], 0, v2
	v_add_u32_e32 v21, v22, v21
	v_add_u32_e32 v28, v30, v28
	s_waitcnt lgkmcnt(0)
	v_cndmask_b32_e64 v1, v1, v31, s[28:29]
	v_cndmask_b32_e64 v1, v1, 0, s[0:1]
	v_add_u32_e32 v4, v1, v4
	v_add_u32_e32 v5, v4, v5
	;; [unrolled: 1-line block ×3, first 2 shown]
	ds_write2_b32 v9, v1, v4 offset0:8 offset1:9
	ds_write2_b32 v11, v5, v6 offset0:2 offset1:3
	s_waitcnt lgkmcnt(0)
	s_barrier
	ds_read_b32 v1, v17 offset:32
	ds_read_b32 v4, v20 offset:32
	;; [unrolled: 1-line block ×4, first 2 shown]
	s_waitcnt lgkmcnt(0)
	v_add_lshl_u32 v1, v1, v18, 1
	s_barrier
	ds_write_b16 v1, v14
	v_add_lshl_u32 v1, v21, v4, 1
	ds_write_b16 v1, v19
	v_add_lshl_u32 v1, v24, v5, 1
	v_lshlrev_b32_e32 v22, 1, v29
	ds_write_b16 v1, v16
	v_add_lshl_u32 v1, v28, v6, 1
	ds_write_b16 v1, v25
	s_waitcnt lgkmcnt(0)
	s_barrier
	ds_read_u16 v16, v22
	ds_read_u16 v14, v22 offset:128
	ds_read_u16 v12, v22 offset:256
	;; [unrolled: 1-line block ×3, first 2 shown]
	v_mov_b32_e32 v19, 3
	s_waitcnt lgkmcnt(3)
	v_lshlrev_b16_sdwa v1, v19, v16 dst_sel:DWORD dst_unused:UNUSED_PAD src0_sel:DWORD src1_sel:BYTE_1
	v_mov_b32_e32 v5, 1
	v_add_lshl_u32 v17, v10, v1, 2
	v_and_b32_sdwa v1, v16, v5 dst_sel:DWORD dst_unused:UNUSED_PAD src0_sel:BYTE_1 src1_sel:DWORD
	v_add_co_u32_e64 v4, s[34:35], -1, v1
	v_addc_co_u32_e64 v18, s[34:35], 0, -1, s[34:35]
	v_cmp_ne_u32_e64 s[34:35], 0, v1
	v_xor_b32_e32 v4, s34, v4
	v_xor_b32_e32 v1, s35, v18
	v_and_b32_e32 v20, exec_lo, v4
	v_mov_b32_e32 v4, 30
	v_and_b32_e32 v18, exec_hi, v1
	v_lshlrev_b32_sdwa v1, v4, v16 dst_sel:DWORD dst_unused:UNUSED_PAD src0_sel:DWORD src1_sel:BYTE_1
	v_cmp_gt_i64_e64 s[34:35], 0, v[0:1]
	v_not_b32_e32 v1, v1
	v_ashrrev_i32_e32 v1, 31, v1
	v_xor_b32_e32 v21, s35, v1
	v_xor_b32_e32 v1, s34, v1
	v_and_b32_e32 v18, v18, v21
	v_mov_b32_e32 v21, 29
	v_and_b32_e32 v20, v20, v1
	v_lshlrev_b32_sdwa v1, v21, v16 dst_sel:DWORD dst_unused:UNUSED_PAD src0_sel:DWORD src1_sel:BYTE_1
	v_cmp_gt_i64_e64 s[34:35], 0, v[0:1]
	v_not_b32_e32 v1, v1
	v_ashrrev_i32_e32 v1, 31, v1
	v_xor_b32_e32 v22, s35, v1
	v_xor_b32_e32 v1, s34, v1
	v_and_b32_e32 v18, v18, v22
	v_mov_b32_e32 v22, 28
	v_and_b32_e32 v20, v20, v1
	v_lshlrev_b32_sdwa v1, v22, v16 dst_sel:DWORD dst_unused:UNUSED_PAD src0_sel:DWORD src1_sel:BYTE_1
	v_cmp_gt_i64_e64 s[34:35], 0, v[0:1]
	v_not_b32_e32 v1, v1
	v_ashrrev_i32_e32 v1, 31, v1
	v_xor_b32_e32 v23, s35, v1
	v_xor_b32_e32 v1, s34, v1
	v_and_b32_e32 v18, v18, v23
	v_mov_b32_e32 v23, 27
	v_and_b32_e32 v20, v20, v1
	v_lshlrev_b32_sdwa v1, v23, v16 dst_sel:DWORD dst_unused:UNUSED_PAD src0_sel:DWORD src1_sel:BYTE_1
	v_cmp_gt_i64_e64 s[34:35], 0, v[0:1]
	v_not_b32_e32 v1, v1
	v_ashrrev_i32_e32 v1, 31, v1
	v_xor_b32_e32 v24, s35, v1
	v_xor_b32_e32 v1, s34, v1
	v_and_b32_e32 v18, v18, v24
	v_mov_b32_e32 v24, 26
	v_and_b32_e32 v20, v20, v1
	v_lshlrev_b32_sdwa v1, v24, v16 dst_sel:DWORD dst_unused:UNUSED_PAD src0_sel:DWORD src1_sel:BYTE_1
	v_cmp_gt_i64_e64 s[34:35], 0, v[0:1]
	v_not_b32_e32 v1, v1
	v_ashrrev_i32_e32 v1, 31, v1
	v_xor_b32_e32 v25, s35, v1
	v_xor_b32_e32 v1, s34, v1
	v_and_b32_e32 v18, v18, v25
	v_mov_b32_e32 v25, 25
	v_and_b32_e32 v20, v20, v1
	v_lshlrev_b32_sdwa v1, v25, v16 dst_sel:DWORD dst_unused:UNUSED_PAD src0_sel:DWORD src1_sel:BYTE_1
	v_cmp_gt_i64_e64 s[34:35], 0, v[0:1]
	v_not_b32_e32 v1, v1
	v_ashrrev_i32_e32 v1, 31, v1
	v_xor_b32_e32 v26, s35, v1
	v_xor_b32_e32 v1, s34, v1
	v_and_b32_e32 v18, v18, v26
	v_mov_b32_e32 v26, 24
	v_and_b32_e32 v20, v20, v1
	v_lshlrev_b32_sdwa v1, v26, v16 dst_sel:DWORD dst_unused:UNUSED_PAD src0_sel:DWORD src1_sel:BYTE_1
	s_waitcnt lgkmcnt(0)
	s_barrier
	ds_write2_b32 v9, v0, v0 offset0:8 offset1:9
	ds_write2_b32 v11, v0, v0 offset0:2 offset1:3
	v_cmp_gt_i64_e64 s[34:35], 0, v[0:1]
	v_not_b32_e32 v0, v1
	v_ashrrev_i32_e32 v0, 31, v0
	v_xor_b32_e32 v1, s35, v0
	v_xor_b32_e32 v0, s34, v0
	v_and_b32_e32 v0, v20, v0
	v_and_b32_e32 v1, v18, v1
	v_mbcnt_lo_u32_b32 v18, v0, 0
	v_mbcnt_hi_u32_b32 v18, v1, v18
	v_cmp_eq_u32_e64 s[34:35], 0, v18
	v_cmp_ne_u64_e64 s[36:37], 0, v[0:1]
	v_cmp_ne_u32_e64 s[2:3], 0, v2
	s_and_b64 s[36:37], s[36:37], s[34:35]
	s_waitcnt lgkmcnt(0)
	s_barrier
	s_waitcnt lgkmcnt(0)
	; wave barrier
	s_and_saveexec_b64 s[34:35], s[36:37]
	s_cbranch_execz .LBB1_18
; %bb.17:
	v_bcnt_u32_b32 v0, v0, 0
	v_bcnt_u32_b32 v0, v1, v0
	ds_write_b32 v17, v0 offset:32
.LBB1_18:
	s_or_b64 exec, exec, s[34:35]
	v_and_b32_sdwa v1, v14, v5 dst_sel:DWORD dst_unused:UNUSED_PAD src0_sel:BYTE_1 src1_sel:DWORD
	v_add_co_u32_e64 v5, s[34:35], -1, v1
	v_addc_co_u32_e64 v27, s[34:35], 0, -1, s[34:35]
	v_cmp_ne_u32_e64 s[34:35], 0, v1
	v_lshlrev_b16_sdwa v0, v19, v14 dst_sel:DWORD dst_unused:UNUSED_PAD src0_sel:DWORD src1_sel:BYTE_1
	v_xor_b32_e32 v1, s35, v27
	v_add_lshl_u32 v20, v10, v0, 2
	v_mov_b32_e32 v0, 0
	v_and_b32_e32 v27, exec_hi, v1
	v_lshlrev_b32_sdwa v1, v4, v14 dst_sel:DWORD dst_unused:UNUSED_PAD src0_sel:DWORD src1_sel:BYTE_1
	v_xor_b32_e32 v5, s34, v5
	v_cmp_gt_i64_e64 s[34:35], 0, v[0:1]
	v_not_b32_e32 v1, v1
	v_ashrrev_i32_e32 v1, 31, v1
	v_and_b32_e32 v5, exec_lo, v5
	v_xor_b32_e32 v4, s35, v1
	v_xor_b32_e32 v1, s34, v1
	v_and_b32_e32 v5, v5, v1
	v_lshlrev_b32_sdwa v1, v21, v14 dst_sel:DWORD dst_unused:UNUSED_PAD src0_sel:DWORD src1_sel:BYTE_1
	v_cmp_gt_i64_e64 s[34:35], 0, v[0:1]
	v_not_b32_e32 v1, v1
	v_ashrrev_i32_e32 v1, 31, v1
	v_xor_b32_e32 v21, s35, v1
	v_xor_b32_e32 v1, s34, v1
	v_and_b32_e32 v5, v5, v1
	v_lshlrev_b32_sdwa v1, v22, v14 dst_sel:DWORD dst_unused:UNUSED_PAD src0_sel:DWORD src1_sel:BYTE_1
	v_cmp_gt_i64_e64 s[34:35], 0, v[0:1]
	v_not_b32_e32 v1, v1
	v_and_b32_e32 v4, v27, v4
	v_ashrrev_i32_e32 v1, 31, v1
	v_and_b32_e32 v4, v4, v21
	v_xor_b32_e32 v21, s35, v1
	v_xor_b32_e32 v1, s34, v1
	v_and_b32_e32 v5, v5, v1
	v_lshlrev_b32_sdwa v1, v23, v14 dst_sel:DWORD dst_unused:UNUSED_PAD src0_sel:DWORD src1_sel:BYTE_1
	v_cmp_gt_i64_e64 s[34:35], 0, v[0:1]
	v_not_b32_e32 v1, v1
	v_ashrrev_i32_e32 v1, 31, v1
	v_and_b32_e32 v4, v4, v21
	v_xor_b32_e32 v21, s35, v1
	v_xor_b32_e32 v1, s34, v1
	v_and_b32_e32 v5, v5, v1
	v_lshlrev_b32_sdwa v1, v24, v14 dst_sel:DWORD dst_unused:UNUSED_PAD src0_sel:DWORD src1_sel:BYTE_1
	v_cmp_gt_i64_e64 s[34:35], 0, v[0:1]
	v_not_b32_e32 v1, v1
	v_ashrrev_i32_e32 v1, 31, v1
	v_and_b32_e32 v4, v4, v21
	v_xor_b32_e32 v21, s35, v1
	v_xor_b32_e32 v1, s34, v1
	v_and_b32_e32 v5, v5, v1
	v_lshlrev_b32_sdwa v1, v25, v14 dst_sel:DWORD dst_unused:UNUSED_PAD src0_sel:DWORD src1_sel:BYTE_1
	v_cmp_gt_i64_e64 s[34:35], 0, v[0:1]
	v_not_b32_e32 v1, v1
	v_ashrrev_i32_e32 v1, 31, v1
	v_and_b32_e32 v4, v4, v21
	v_xor_b32_e32 v21, s35, v1
	v_xor_b32_e32 v1, s34, v1
	v_and_b32_e32 v4, v4, v21
	v_and_b32_e32 v21, v5, v1
	v_lshlrev_b32_sdwa v1, v26, v14 dst_sel:DWORD dst_unused:UNUSED_PAD src0_sel:DWORD src1_sel:BYTE_1
	v_cmp_gt_i64_e64 s[34:35], 0, v[0:1]
	v_not_b32_e32 v1, v1
	v_ashrrev_i32_e32 v1, 31, v1
	v_xor_b32_e32 v5, s35, v1
	v_xor_b32_e32 v1, s34, v1
	; wave barrier
	ds_read_b32 v19, v20 offset:32
	v_and_b32_e32 v5, v4, v5
	v_and_b32_e32 v4, v21, v1
	v_mbcnt_lo_u32_b32 v1, v4, 0
	v_mbcnt_hi_u32_b32 v21, v5, v1
	v_cmp_eq_u32_e64 s[34:35], 0, v21
	v_cmp_ne_u64_e64 s[36:37], 0, v[4:5]
	s_and_b64 s[36:37], s[36:37], s[34:35]
	; wave barrier
	s_and_saveexec_b64 s[34:35], s[36:37]
	s_cbranch_execz .LBB1_20
; %bb.19:
	v_bcnt_u32_b32 v1, v4, 0
	v_bcnt_u32_b32 v1, v5, v1
	s_waitcnt lgkmcnt(0)
	v_add_u32_e32 v1, v19, v1
	ds_write_b32 v20, v1 offset:32
.LBB1_20:
	s_or_b64 exec, exec, s[34:35]
	v_mov_b32_e32 v4, 3
	v_lshlrev_b16_sdwa v1, v4, v12 dst_sel:DWORD dst_unused:UNUSED_PAD src0_sel:DWORD src1_sel:BYTE_1
	v_mov_b32_e32 v26, 1
	v_add_lshl_u32 v22, v10, v1, 2
	v_and_b32_sdwa v1, v12, v26 dst_sel:DWORD dst_unused:UNUSED_PAD src0_sel:BYTE_1 src1_sel:DWORD
	v_add_co_u32_e64 v5, s[34:35], -1, v1
	v_addc_co_u32_e64 v24, s[34:35], 0, -1, s[34:35]
	v_cmp_ne_u32_e64 s[34:35], 0, v1
	v_xor_b32_e32 v5, s34, v5
	v_xor_b32_e32 v1, s35, v24
	v_and_b32_e32 v25, exec_lo, v5
	v_mov_b32_e32 v5, 30
	v_and_b32_e32 v24, exec_hi, v1
	v_lshlrev_b32_sdwa v1, v5, v12 dst_sel:DWORD dst_unused:UNUSED_PAD src0_sel:DWORD src1_sel:BYTE_1
	v_cmp_gt_i64_e64 s[34:35], 0, v[0:1]
	v_not_b32_e32 v1, v1
	v_ashrrev_i32_e32 v1, 31, v1
	v_xor_b32_e32 v27, s35, v1
	v_xor_b32_e32 v1, s34, v1
	v_and_b32_e32 v24, v24, v27
	v_mov_b32_e32 v27, 29
	v_and_b32_e32 v25, v25, v1
	v_lshlrev_b32_sdwa v1, v27, v12 dst_sel:DWORD dst_unused:UNUSED_PAD src0_sel:DWORD src1_sel:BYTE_1
	v_cmp_gt_i64_e64 s[34:35], 0, v[0:1]
	v_not_b32_e32 v1, v1
	v_ashrrev_i32_e32 v1, 31, v1
	v_xor_b32_e32 v28, s35, v1
	v_xor_b32_e32 v1, s34, v1
	v_and_b32_e32 v24, v24, v28
	v_mov_b32_e32 v28, 28
	v_and_b32_e32 v25, v25, v1
	;; [unrolled: 9-line block ×6, first 2 shown]
	v_lshlrev_b32_sdwa v1, v32, v12 dst_sel:DWORD dst_unused:UNUSED_PAD src0_sel:DWORD src1_sel:BYTE_1
	v_cmp_gt_i64_e64 s[34:35], 0, v[0:1]
	v_not_b32_e32 v0, v1
	v_ashrrev_i32_e32 v0, 31, v0
	v_xor_b32_e32 v1, s35, v0
	v_xor_b32_e32 v0, s34, v0
	; wave barrier
	ds_read_b32 v23, v22 offset:32
	v_and_b32_e32 v0, v25, v0
	v_and_b32_e32 v1, v24, v1
	v_mbcnt_lo_u32_b32 v24, v0, 0
	v_mbcnt_hi_u32_b32 v24, v1, v24
	v_cmp_eq_u32_e64 s[34:35], 0, v24
	v_cmp_ne_u64_e64 s[36:37], 0, v[0:1]
	s_and_b64 s[36:37], s[36:37], s[34:35]
	; wave barrier
	s_and_saveexec_b64 s[34:35], s[36:37]
	s_cbranch_execz .LBB1_22
; %bb.21:
	v_bcnt_u32_b32 v0, v0, 0
	v_bcnt_u32_b32 v0, v1, v0
	s_waitcnt lgkmcnt(0)
	v_add_u32_e32 v0, v23, v0
	ds_write_b32 v22, v0 offset:32
.LBB1_22:
	s_or_b64 exec, exec, s[34:35]
	v_and_b32_sdwa v1, v6, v26 dst_sel:DWORD dst_unused:UNUSED_PAD src0_sel:BYTE_1 src1_sel:DWORD
	v_lshlrev_b16_sdwa v0, v4, v6 dst_sel:DWORD dst_unused:UNUSED_PAD src0_sel:DWORD src1_sel:BYTE_1
	v_add_co_u32_e64 v4, s[34:35], -1, v1
	v_addc_co_u32_e64 v26, s[34:35], 0, -1, s[34:35]
	v_cmp_ne_u32_e64 s[34:35], 0, v1
	v_xor_b32_e32 v1, s35, v26
	v_add_lshl_u32 v10, v10, v0, 2
	v_mov_b32_e32 v0, 0
	v_and_b32_e32 v26, exec_hi, v1
	v_lshlrev_b32_sdwa v1, v5, v6 dst_sel:DWORD dst_unused:UNUSED_PAD src0_sel:DWORD src1_sel:BYTE_1
	v_xor_b32_e32 v4, s34, v4
	v_cmp_gt_i64_e64 s[34:35], 0, v[0:1]
	v_not_b32_e32 v1, v1
	v_ashrrev_i32_e32 v1, 31, v1
	v_and_b32_e32 v4, exec_lo, v4
	v_xor_b32_e32 v5, s35, v1
	v_xor_b32_e32 v1, s34, v1
	v_and_b32_e32 v4, v4, v1
	v_lshlrev_b32_sdwa v1, v27, v6 dst_sel:DWORD dst_unused:UNUSED_PAD src0_sel:DWORD src1_sel:BYTE_1
	v_cmp_gt_i64_e64 s[34:35], 0, v[0:1]
	v_not_b32_e32 v1, v1
	v_ashrrev_i32_e32 v1, 31, v1
	v_and_b32_e32 v5, v26, v5
	v_xor_b32_e32 v26, s35, v1
	v_xor_b32_e32 v1, s34, v1
	v_and_b32_e32 v4, v4, v1
	v_lshlrev_b32_sdwa v1, v28, v6 dst_sel:DWORD dst_unused:UNUSED_PAD src0_sel:DWORD src1_sel:BYTE_1
	v_cmp_gt_i64_e64 s[34:35], 0, v[0:1]
	v_not_b32_e32 v1, v1
	v_ashrrev_i32_e32 v1, 31, v1
	v_and_b32_e32 v5, v5, v26
	v_xor_b32_e32 v26, s35, v1
	v_xor_b32_e32 v1, s34, v1
	v_and_b32_e32 v4, v4, v1
	v_lshlrev_b32_sdwa v1, v29, v6 dst_sel:DWORD dst_unused:UNUSED_PAD src0_sel:DWORD src1_sel:BYTE_1
	v_cmp_gt_i64_e64 s[34:35], 0, v[0:1]
	v_not_b32_e32 v1, v1
	v_ashrrev_i32_e32 v1, 31, v1
	v_and_b32_e32 v5, v5, v26
	v_xor_b32_e32 v26, s35, v1
	v_xor_b32_e32 v1, s34, v1
	v_and_b32_e32 v4, v4, v1
	v_lshlrev_b32_sdwa v1, v30, v6 dst_sel:DWORD dst_unused:UNUSED_PAD src0_sel:DWORD src1_sel:BYTE_1
	v_cmp_gt_i64_e64 s[34:35], 0, v[0:1]
	v_not_b32_e32 v1, v1
	v_ashrrev_i32_e32 v1, 31, v1
	v_and_b32_e32 v5, v5, v26
	v_xor_b32_e32 v26, s35, v1
	v_xor_b32_e32 v1, s34, v1
	v_and_b32_e32 v4, v4, v1
	v_lshlrev_b32_sdwa v1, v31, v6 dst_sel:DWORD dst_unused:UNUSED_PAD src0_sel:DWORD src1_sel:BYTE_1
	v_cmp_gt_i64_e64 s[34:35], 0, v[0:1]
	v_not_b32_e32 v1, v1
	v_ashrrev_i32_e32 v1, 31, v1
	v_and_b32_e32 v5, v5, v26
	v_xor_b32_e32 v26, s35, v1
	v_xor_b32_e32 v1, s34, v1
	v_and_b32_e32 v4, v4, v1
	v_lshlrev_b32_sdwa v1, v32, v6 dst_sel:DWORD dst_unused:UNUSED_PAD src0_sel:DWORD src1_sel:BYTE_1
	v_cmp_gt_i64_e64 s[34:35], 0, v[0:1]
	v_not_b32_e32 v0, v1
	v_ashrrev_i32_e32 v0, 31, v0
	v_xor_b32_e32 v1, s35, v0
	v_xor_b32_e32 v0, s34, v0
	; wave barrier
	ds_read_b32 v25, v10 offset:32
	v_and_b32_e32 v5, v5, v26
	v_and_b32_e32 v0, v4, v0
	;; [unrolled: 1-line block ×3, first 2 shown]
	v_mbcnt_lo_u32_b32 v4, v0, 0
	v_mbcnt_hi_u32_b32 v26, v1, v4
	v_cmp_eq_u32_e64 s[34:35], 0, v26
	v_cmp_ne_u64_e64 s[36:37], 0, v[0:1]
	s_and_b64 s[36:37], s[36:37], s[34:35]
	; wave barrier
	s_and_saveexec_b64 s[34:35], s[36:37]
	s_cbranch_execz .LBB1_24
; %bb.23:
	v_bcnt_u32_b32 v0, v0, 0
	v_bcnt_u32_b32 v0, v1, v0
	s_waitcnt lgkmcnt(0)
	v_add_u32_e32 v0, v25, v0
	ds_write_b32 v10, v0 offset:32
.LBB1_24:
	s_or_b64 exec, exec, s[34:35]
	; wave barrier
	s_waitcnt lgkmcnt(0)
	s_barrier
	ds_read2_b32 v[4:5], v9 offset0:8 offset1:9
	ds_read2_b32 v[0:1], v11 offset0:2 offset1:3
	s_waitcnt lgkmcnt(1)
	v_add_u32_e32 v27, v5, v4
	s_waitcnt lgkmcnt(0)
	v_add3_u32 v1, v27, v0, v1
	s_nop 1
	v_mov_b32_dpp v27, v1 row_shr:1 row_mask:0xf bank_mask:0xf
	v_cndmask_b32_e64 v27, v27, 0, s[14:15]
	v_add_u32_e32 v1, v27, v1
	s_nop 1
	v_mov_b32_dpp v27, v1 row_shr:2 row_mask:0xf bank_mask:0xf
	v_cndmask_b32_e64 v27, 0, v27, s[16:17]
	v_add_u32_e32 v1, v1, v27
	;; [unrolled: 4-line block ×4, first 2 shown]
	s_nop 1
	v_mov_b32_dpp v27, v1 row_bcast:15 row_mask:0xf bank_mask:0xf
	v_cndmask_b32_e64 v27, v27, 0, s[4:5]
	v_add_u32_e32 v1, v1, v27
	s_nop 1
	v_mov_b32_dpp v27, v1 row_bcast:31 row_mask:0xf bank_mask:0xf
	v_cndmask_b32_e64 v27, 0, v27, s[24:25]
	v_add_u32_e32 v1, v1, v27
	s_and_saveexec_b64 s[4:5], s[30:31]
	s_cbranch_execz .LBB1_26
; %bb.25:
	ds_write_b32 v15, v1
.LBB1_26:
	s_or_b64 exec, exec, s[4:5]
	s_waitcnt lgkmcnt(0)
	s_barrier
	s_and_saveexec_b64 s[4:5], s[20:21]
	s_cbranch_execz .LBB1_28
; %bb.27:
	ds_read_b32 v15, v8
	s_waitcnt lgkmcnt(0)
	s_nop 0
	v_mov_b32_dpp v27, v15 row_shr:1 row_mask:0xf bank_mask:0xf
	v_cndmask_b32_e64 v27, v27, 0, s[12:13]
	v_add_u32_e32 v15, v27, v15
	s_nop 1
	v_mov_b32_dpp v27, v15 row_shr:2 row_mask:0xf bank_mask:0xf
	v_cndmask_b32_e64 v27, 0, v27, s[10:11]
	v_add_u32_e32 v15, v15, v27
	;; [unrolled: 4-line block ×3, first 2 shown]
	ds_write_b32 v8, v15
.LBB1_28:
	s_or_b64 exec, exec, s[4:5]
	v_mov_b32_e32 v15, 0
	s_waitcnt lgkmcnt(0)
	s_barrier
	s_and_saveexec_b64 s[4:5], s[26:27]
	s_cbranch_execz .LBB1_30
; %bb.29:
	ds_read_b32 v15, v7
.LBB1_30:
	s_or_b64 exec, exec, s[4:5]
	s_waitcnt lgkmcnt(0)
	v_add_u32_e32 v1, v15, v1
	ds_bpermute_b32 v1, v13, v1
	s_waitcnt lgkmcnt(0)
	v_cndmask_b32_e64 v1, v1, v15, s[28:29]
	v_cndmask_b32_e64 v1, v1, 0, s[0:1]
	v_add_u32_e32 v4, v1, v4
	v_add_u32_e32 v5, v4, v5
	;; [unrolled: 1-line block ×3, first 2 shown]
	ds_write2_b32 v9, v1, v4 offset0:8 offset1:9
	ds_write2_b32 v11, v5, v0 offset0:2 offset1:3
	s_waitcnt lgkmcnt(0)
	s_barrier
	ds_read_b32 v4, v10 offset:32
	ds_read_b32 v5, v22 offset:32
	;; [unrolled: 1-line block ×4, first 2 shown]
	v_add_u32_e32 v0, v26, v25
	v_add_u32_e32 v1, v24, v23
	;; [unrolled: 1-line block ×3, first 2 shown]
	s_waitcnt lgkmcnt(1)
	v_add_lshl_u32 v7, v10, v7, 1
	s_waitcnt lgkmcnt(0)
	v_add_lshl_u32 v9, v9, v18, 1
	v_add_lshl_u32 v1, v1, v5, 1
	;; [unrolled: 1-line block ×3, first 2 shown]
	s_barrier
	ds_write_b16 v9, v16
	ds_write_b16 v7, v14
	;; [unrolled: 1-line block ×4, first 2 shown]
	v_lshlrev_b32_e32 v0, 1, v8
	s_waitcnt lgkmcnt(0)
	s_barrier
	ds_read_b64 v[0:1], v0
	s_waitcnt lgkmcnt(0)
	s_barrier
	s_and_saveexec_b64 s[4:5], vcc
	s_cbranch_execz .LBB1_32
; %bb.31:
	v_mov_b32_e32 v4, 0x800
	ds_write2st64_b32 v8, v4, v4 offset0:8 offset1:16
.LBB1_32:
	s_or_b64 exec, exec, s[4:5]
	v_lshrrev_b32_e32 v4, 16, v1
	v_cmp_ne_u16_e64 s[4:5], v1, v4
	s_waitcnt lgkmcnt(0)
	s_barrier
	ds_write_b16 v3, v4
	s_and_saveexec_b64 s[8:9], s[4:5]
	s_cbranch_execnz .LBB1_46
; %bb.33:
	s_or_b64 exec, exec, s[8:9]
	v_cmp_ne_u16_sdwa s[8:9], v0, v1 src0_sel:WORD_1 src1_sel:DWORD
	s_and_saveexec_b64 s[4:5], s[8:9]
	s_cbranch_execnz .LBB1_47
.LBB1_34:
	s_or_b64 exec, exec, s[4:5]
	v_cmp_ne_u16_sdwa s[8:9], v0, v0 src0_sel:DWORD src1_sel:WORD_1
	s_and_saveexec_b64 s[4:5], s[8:9]
	s_cbranch_execz .LBB1_36
.LBB1_35:
	v_and_b32_sdwa v5, s7, v0 dst_sel:DWORD dst_unused:UNUSED_PAD src0_sel:DWORD src1_sel:WORD_1
	v_or_b32_e32 v1, 1, v8
	v_mov_b32_e32 v4, 2
	v_lshlrev_b32_e32 v5, 2, v5
	v_lshlrev_b32_sdwa v4, v4, v0 dst_sel:DWORD dst_unused:UNUSED_PAD src0_sel:DWORD src1_sel:WORD_0
	ds_write_b32 v5, v1 offset:2048
	ds_write_b32 v4, v1 offset:4096
.LBB1_36:
	s_or_b64 exec, exec, s[4:5]
	s_waitcnt lgkmcnt(0)
	s_barrier
	s_and_saveexec_b64 s[4:5], s[2:3]
	s_cbranch_execz .LBB1_39
; %bb.37:
	v_add_u32_e32 v1, -2, v3
	ds_read_u16 v1, v1
	s_waitcnt lgkmcnt(0)
	v_cmp_ne_u16_e64 s[2:3], v1, v0
	s_and_b64 exec, exec, s[2:3]
	s_cbranch_execz .LBB1_39
; %bb.38:
	v_mov_b32_e32 v4, 2
	v_lshlrev_b32_sdwa v5, v4, v0 dst_sel:DWORD dst_unused:UNUSED_PAD src0_sel:DWORD src1_sel:WORD_0
	v_lshlrev_b32_sdwa v1, v4, v1 dst_sel:DWORD dst_unused:UNUSED_PAD src0_sel:DWORD src1_sel:WORD_0
	ds_write_b32 v5, v8 offset:2048
	ds_write_b32 v1, v8 offset:4096
.LBB1_39:
	s_or_b64 exec, exec, s[4:5]
	s_waitcnt lgkmcnt(0)
	s_barrier
	s_and_saveexec_b64 s[2:3], s[0:1]
	s_cbranch_execz .LBB1_41
; %bb.40:
	v_mov_b32_e32 v1, 2
	v_lshlrev_b32_sdwa v0, v1, v0 dst_sel:DWORD dst_unused:UNUSED_PAD src0_sel:DWORD src1_sel:WORD_0
	v_mov_b32_e32 v1, 0
	ds_write_b32 v0, v1 offset:2048
.LBB1_41:
	s_or_b64 exec, exec, s[2:3]
	s_waitcnt lgkmcnt(0)
	s_barrier
	s_and_saveexec_b64 s[0:1], vcc
	s_cbranch_execz .LBB1_43
; %bb.42:
	ds_read2st64_b32 v[0:1], v8 offset0:8 offset1:16
	ds_read_u16 v4, v3 offset:8224
	s_waitcnt lgkmcnt(1)
	v_sub_u32_e32 v0, v1, v0
	s_waitcnt lgkmcnt(0)
	v_add_u16_e32 v0, v4, v0
	ds_write_b16 v3, v0 offset:8224
.LBB1_43:
	s_or_b64 exec, exec, s[0:1]
	s_waitcnt lgkmcnt(0)
	s_barrier
	s_and_saveexec_b64 s[0:1], vcc
	s_cbranch_execz .LBB1_45
; %bb.44:
	ds_read_u16 v3, v3 offset:8224
	v_lshl_or_b32 v0, s6, 9, v2
	v_mov_b32_e32 v1, 0
	v_lshlrev_b64 v[0:1], 1, v[0:1]
	v_mov_b32_e32 v2, s39
	v_add_co_u32_e32 v0, vcc, s38, v0
	v_addc_co_u32_e32 v1, vcc, v2, v1, vcc
	s_waitcnt lgkmcnt(0)
	global_store_short v[0:1], v3, off
.LBB1_45:
	s_endpgm
.LBB1_46:
	v_mov_b32_e32 v6, 2
	v_or_b32_e32 v5, 3, v8
	v_lshlrev_b32_sdwa v4, v6, v4 dst_sel:DWORD dst_unused:UNUSED_PAD src0_sel:DWORD src1_sel:WORD_0
	v_lshlrev_b32_sdwa v7, v6, v1 dst_sel:DWORD dst_unused:UNUSED_PAD src0_sel:DWORD src1_sel:WORD_0
	ds_write_b32 v4, v5 offset:2048
	ds_write_b32 v7, v5 offset:4096
	s_or_b64 exec, exec, s[8:9]
	v_cmp_ne_u16_sdwa s[8:9], v0, v1 src0_sel:WORD_1 src1_sel:DWORD
	s_and_saveexec_b64 s[4:5], s[8:9]
	s_cbranch_execz .LBB1_34
.LBB1_47:
	v_mov_b32_e32 v6, 2
	v_or_b32_e32 v4, 2, v8
	v_and_b32_sdwa v5, s7, v0 dst_sel:DWORD dst_unused:UNUSED_PAD src0_sel:DWORD src1_sel:WORD_1
	v_lshlrev_b32_sdwa v1, v6, v1 dst_sel:DWORD dst_unused:UNUSED_PAD src0_sel:DWORD src1_sel:WORD_0
	v_lshlrev_b32_e32 v5, 2, v5
	ds_write_b32 v1, v4 offset:2048
	ds_write_b32 v5, v4 offset:4096
	s_or_b64 exec, exec, s[4:5]
	v_cmp_ne_u16_sdwa s[8:9], v0, v0 src0_sel:DWORD src1_sel:WORD_1
	s_and_saveexec_b64 s[4:5], s[8:9]
	s_cbranch_execnz .LBB1_35
	s_branch .LBB1_36
	.section	.rodata,"a",@progbits
	.p2align	6, 0x0
	.amdhsa_kernel _Z16histogram_kernelILj512ELj4ELj512ELN6hipcub23BlockHistogramAlgorithmE1EtEvPT3_S3_
		.amdhsa_group_segment_fixed_size 9248
		.amdhsa_private_segment_fixed_size 0
		.amdhsa_kernarg_size 272
		.amdhsa_user_sgpr_count 6
		.amdhsa_user_sgpr_private_segment_buffer 1
		.amdhsa_user_sgpr_dispatch_ptr 0
		.amdhsa_user_sgpr_queue_ptr 0
		.amdhsa_user_sgpr_kernarg_segment_ptr 1
		.amdhsa_user_sgpr_dispatch_id 0
		.amdhsa_user_sgpr_flat_scratch_init 0
		.amdhsa_user_sgpr_kernarg_preload_length 0
		.amdhsa_user_sgpr_kernarg_preload_offset 0
		.amdhsa_user_sgpr_private_segment_size 0
		.amdhsa_uses_dynamic_stack 0
		.amdhsa_system_sgpr_private_segment_wavefront_offset 0
		.amdhsa_system_sgpr_workgroup_id_x 1
		.amdhsa_system_sgpr_workgroup_id_y 0
		.amdhsa_system_sgpr_workgroup_id_z 0
		.amdhsa_system_sgpr_workgroup_info 0
		.amdhsa_system_vgpr_workitem_id 2
		.amdhsa_next_free_vgpr 33
		.amdhsa_next_free_sgpr 40
		.amdhsa_accum_offset 36
		.amdhsa_reserve_vcc 1
		.amdhsa_reserve_flat_scratch 0
		.amdhsa_float_round_mode_32 0
		.amdhsa_float_round_mode_16_64 0
		.amdhsa_float_denorm_mode_32 3
		.amdhsa_float_denorm_mode_16_64 3
		.amdhsa_dx10_clamp 1
		.amdhsa_ieee_mode 1
		.amdhsa_fp16_overflow 0
		.amdhsa_tg_split 0
		.amdhsa_exception_fp_ieee_invalid_op 0
		.amdhsa_exception_fp_denorm_src 0
		.amdhsa_exception_fp_ieee_div_zero 0
		.amdhsa_exception_fp_ieee_overflow 0
		.amdhsa_exception_fp_ieee_underflow 0
		.amdhsa_exception_fp_ieee_inexact 0
		.amdhsa_exception_int_div_zero 0
	.end_amdhsa_kernel
	.section	.text._Z16histogram_kernelILj512ELj4ELj512ELN6hipcub23BlockHistogramAlgorithmE1EtEvPT3_S3_,"axG",@progbits,_Z16histogram_kernelILj512ELj4ELj512ELN6hipcub23BlockHistogramAlgorithmE1EtEvPT3_S3_,comdat
.Lfunc_end1:
	.size	_Z16histogram_kernelILj512ELj4ELj512ELN6hipcub23BlockHistogramAlgorithmE1EtEvPT3_S3_, .Lfunc_end1-_Z16histogram_kernelILj512ELj4ELj512ELN6hipcub23BlockHistogramAlgorithmE1EtEvPT3_S3_
                                        ; -- End function
	.section	.AMDGPU.csdata,"",@progbits
; Kernel info:
; codeLenInByte = 6084
; NumSgprs: 44
; NumVgprs: 33
; NumAgprs: 0
; TotalNumVgprs: 33
; ScratchSize: 0
; MemoryBound: 0
; FloatMode: 240
; IeeeMode: 1
; LDSByteSize: 9248 bytes/workgroup (compile time only)
; SGPRBlocks: 5
; VGPRBlocks: 4
; NumSGPRsForWavesPerEU: 44
; NumVGPRsForWavesPerEU: 33
; AccumOffset: 36
; Occupancy: 8
; WaveLimiterHint : 0
; COMPUTE_PGM_RSRC2:SCRATCH_EN: 0
; COMPUTE_PGM_RSRC2:USER_SGPR: 6
; COMPUTE_PGM_RSRC2:TRAP_HANDLER: 0
; COMPUTE_PGM_RSRC2:TGID_X_EN: 1
; COMPUTE_PGM_RSRC2:TGID_Y_EN: 0
; COMPUTE_PGM_RSRC2:TGID_Z_EN: 0
; COMPUTE_PGM_RSRC2:TIDIG_COMP_CNT: 2
; COMPUTE_PGM_RSRC3_GFX90A:ACCUM_OFFSET: 8
; COMPUTE_PGM_RSRC3_GFX90A:TG_SPLIT: 0
	.section	.text._Z16histogram_kernelILj256ELj3ELj512ELN6hipcub23BlockHistogramAlgorithmE1EtEvPT3_S3_,"axG",@progbits,_Z16histogram_kernelILj256ELj3ELj512ELN6hipcub23BlockHistogramAlgorithmE1EtEvPT3_S3_,comdat
	.protected	_Z16histogram_kernelILj256ELj3ELj512ELN6hipcub23BlockHistogramAlgorithmE1EtEvPT3_S3_ ; -- Begin function _Z16histogram_kernelILj256ELj3ELj512ELN6hipcub23BlockHistogramAlgorithmE1EtEvPT3_S3_
	.globl	_Z16histogram_kernelILj256ELj3ELj512ELN6hipcub23BlockHistogramAlgorithmE1EtEvPT3_S3_
	.p2align	8
	.type	_Z16histogram_kernelILj256ELj3ELj512ELN6hipcub23BlockHistogramAlgorithmE1EtEvPT3_S3_,@function
_Z16histogram_kernelILj256ELj3ELj512ELN6hipcub23BlockHistogramAlgorithmE1EtEvPT3_S3_: ; @_Z16histogram_kernelILj256ELj3ELj512ELN6hipcub23BlockHistogramAlgorithmE1EtEvPT3_S3_
; %bb.0:
	s_load_dwordx4 s[36:39], s[4:5], 0x0
	v_and_b32_e32 v2, 0x3ff, v0
	v_lshl_or_b32 v1, s6, 8, v2
	v_lshl_add_u32 v4, v1, 1, v1
	v_mov_b32_e32 v5, 0
	v_lshlrev_b64 v[6:7], 1, v[4:5]
	s_waitcnt lgkmcnt(0)
	v_mov_b32_e32 v1, s37
	v_add_co_u32_e32 v8, vcc, s36, v6
	v_addc_co_u32_e32 v9, vcc, v1, v7, vcc
	v_add_u32_e32 v6, 1, v4
	v_mov_b32_e32 v7, v5
	v_lshlrev_b64 v[6:7], 1, v[6:7]
	v_add_co_u32_e32 v10, vcc, s36, v6
	v_add_u32_e32 v4, 2, v4
	v_addc_co_u32_e32 v11, vcc, v1, v7, vcc
	v_lshlrev_b64 v[6:7], 1, v[4:5]
	v_add_co_u32_e32 v12, vcc, s36, v6
	v_addc_co_u32_e32 v13, vcc, v1, v7, vcc
	global_load_ushort v1, v[8:9], off
	global_load_ushort v4, v[10:11], off
	;; [unrolled: 1-line block ×3, first 2 shown]
	s_movk_i32 s0, 0x200
	v_cmp_gt_u32_e64 s[0:1], s0, v2
	v_lshlrev_b32_e32 v3, 1, v2
	s_and_saveexec_b64 s[2:3], s[0:1]
	s_cbranch_execz .LBB2_2
; %bb.1:
	ds_write_b16 v3, v5 offset:5120
.LBB2_2:
	s_or_b64 exec, exec, s[2:3]
	s_movk_i32 s2, 0x100
	v_cmp_gt_u32_e32 vcc, s2, v2
	s_and_saveexec_b64 s[2:3], vcc
	s_cbranch_execz .LBB2_4
; %bb.3:
	v_mov_b32_e32 v5, 0
	ds_write_b16 v3, v5 offset:5632
.LBB2_4:
	s_or_b64 exec, exec, s[2:3]
	v_mbcnt_lo_u32_b32 v5, -1, 0
	v_mbcnt_hi_u32_b32 v15, -1, v5
	v_lshrrev_b32_e32 v11, 6, v2
	v_mul_u32_u24_e32 v5, 0xc0, v11
	v_mul_u32_u24_e32 v7, 3, v15
	v_add_lshl_u32 v7, v7, v5, 1
	s_waitcnt lgkmcnt(0)
	s_barrier
	s_waitcnt vmcnt(2)
	ds_write_b16 v7, v1
	s_waitcnt vmcnt(1)
	ds_write_b16 v7, v4 offset:2
	s_waitcnt vmcnt(0)
	ds_write_b16 v7, v6 offset:4
	v_add_lshl_u32 v1, v15, v5, 1
	; wave barrier
	ds_read_u16 v14, v1
	ds_read_u16 v13, v1 offset:128
	ds_read_u16 v12, v1 offset:256
	s_waitcnt lgkmcnt(0)
	s_barrier
	s_waitcnt lgkmcnt(0)
	; wave barrier
	s_barrier
	s_load_dword s2, s[4:5], 0x1c
	v_bfe_u32 v1, v0, 10, 10
	v_bfe_u32 v0, v0, 20, 10
	v_mov_b32_e32 v6, 2
	v_mov_b32_e32 v4, 0
	s_waitcnt lgkmcnt(0)
	s_lshr_b32 s3, s2, 16
	s_and_b32 s2, s2, 0xffff
	v_mad_u32_u24 v0, v0, s3, v1
	v_mad_u64_u32 v[0:1], s[2:3], v0, s2, v[2:3]
	v_lshrrev_b32_e32 v9, 6, v0
	v_lshlrev_b16_sdwa v0, v6, v14 dst_sel:DWORD dst_unused:UNUSED_PAD src0_sel:DWORD src1_sel:BYTE_0
	v_add_lshl_u32 v18, v9, v0, 2
	v_and_b32_e32 v0, 1, v14
	v_add_co_u32_e64 v1, s[2:3], -1, v0
	v_addc_co_u32_e64 v5, s[2:3], 0, -1, s[2:3]
	v_cmp_ne_u32_e64 s[2:3], 0, v0
	v_xor_b32_e32 v0, s3, v5
	v_lshlrev_b32_e32 v5, 30, v14
	v_xor_b32_e32 v1, s2, v1
	v_cmp_gt_i64_e64 s[2:3], 0, v[4:5]
	v_not_b32_e32 v5, v5
	v_ashrrev_i32_e32 v5, 31, v5
	v_and_b32_e32 v1, exec_lo, v1
	v_xor_b32_e32 v7, s3, v5
	v_xor_b32_e32 v5, s2, v5
	v_and_b32_e32 v1, v1, v5
	v_lshlrev_b32_e32 v5, 29, v14
	v_cmp_gt_i64_e64 s[2:3], 0, v[4:5]
	v_not_b32_e32 v5, v5
	v_and_b32_e32 v0, exec_hi, v0
	v_ashrrev_i32_e32 v5, 31, v5
	v_and_b32_e32 v0, v0, v7
	v_xor_b32_e32 v7, s3, v5
	v_xor_b32_e32 v5, s2, v5
	v_and_b32_e32 v1, v1, v5
	v_lshlrev_b32_e32 v5, 28, v14
	v_cmp_gt_i64_e64 s[2:3], 0, v[4:5]
	v_not_b32_e32 v5, v5
	v_ashrrev_i32_e32 v5, 31, v5
	v_and_b32_e32 v0, v0, v7
	v_xor_b32_e32 v7, s3, v5
	v_xor_b32_e32 v5, s2, v5
	v_and_b32_e32 v1, v1, v5
	v_lshlrev_b32_e32 v5, 27, v14
	v_cmp_gt_i64_e64 s[2:3], 0, v[4:5]
	v_not_b32_e32 v5, v5
	;; [unrolled: 8-line block ×4, first 2 shown]
	v_ashrrev_i32_e32 v5, 31, v5
	v_and_b32_e32 v0, v0, v7
	v_xor_b32_e32 v7, s3, v5
	v_xor_b32_e32 v5, s2, v5
	v_and_b32_e32 v0, v0, v7
	v_and_b32_e32 v7, v1, v5
	v_lshlrev_b32_e32 v5, 24, v14
	v_not_b32_e32 v1, v5
	v_cmp_gt_i64_e64 s[2:3], 0, v[4:5]
	v_ashrrev_i32_e32 v1, 31, v1
	v_xor_b32_e32 v5, s3, v1
	v_xor_b32_e32 v10, s2, v1
	v_and_b32_e32 v1, v0, v5
	v_and_b32_e32 v0, v7, v10
	v_mbcnt_lo_u32_b32 v5, v0, 0
	v_mbcnt_hi_u32_b32 v19, v1, v5
	v_cmp_eq_u32_e64 s[2:3], 0, v19
	v_cmp_ne_u64_e64 s[4:5], 0, v[0:1]
	v_lshlrev_b32_e32 v8, 4, v2
	s_and_b64 s[4:5], s[4:5], s[2:3]
	ds_write2_b32 v8, v4, v4 offset0:4 offset1:5
	ds_write2_b32 v8, v4, v4 offset0:6 offset1:7
	s_waitcnt lgkmcnt(0)
	s_barrier
	s_waitcnt lgkmcnt(0)
	; wave barrier
	s_and_saveexec_b64 s[2:3], s[4:5]
	s_cbranch_execz .LBB2_6
; %bb.5:
	v_bcnt_u32_b32 v0, v0, 0
	v_bcnt_u32_b32 v0, v1, v0
	ds_write_b32 v18, v0 offset:16
.LBB2_6:
	s_or_b64 exec, exec, s[2:3]
	v_lshlrev_b16_sdwa v0, v6, v13 dst_sel:DWORD dst_unused:UNUSED_PAD src0_sel:DWORD src1_sel:BYTE_0
	v_add_lshl_u32 v20, v9, v0, 2
	v_and_b32_e32 v0, 1, v13
	v_add_co_u32_e64 v1, s[2:3], -1, v0
	v_addc_co_u32_e64 v5, s[2:3], 0, -1, s[2:3]
	v_cmp_ne_u32_e64 s[2:3], 0, v0
	v_xor_b32_e32 v0, s3, v5
	v_lshlrev_b32_e32 v5, 30, v13
	v_xor_b32_e32 v1, s2, v1
	v_cmp_gt_i64_e64 s[2:3], 0, v[4:5]
	v_not_b32_e32 v5, v5
	v_ashrrev_i32_e32 v5, 31, v5
	v_and_b32_e32 v1, exec_lo, v1
	v_xor_b32_e32 v6, s3, v5
	v_xor_b32_e32 v5, s2, v5
	v_and_b32_e32 v1, v1, v5
	v_lshlrev_b32_e32 v5, 29, v13
	v_cmp_gt_i64_e64 s[2:3], 0, v[4:5]
	v_not_b32_e32 v5, v5
	v_and_b32_e32 v0, exec_hi, v0
	v_ashrrev_i32_e32 v5, 31, v5
	v_and_b32_e32 v0, v0, v6
	v_xor_b32_e32 v6, s3, v5
	v_xor_b32_e32 v5, s2, v5
	v_and_b32_e32 v1, v1, v5
	v_lshlrev_b32_e32 v5, 28, v13
	v_cmp_gt_i64_e64 s[2:3], 0, v[4:5]
	v_not_b32_e32 v5, v5
	v_ashrrev_i32_e32 v5, 31, v5
	v_and_b32_e32 v0, v0, v6
	v_xor_b32_e32 v6, s3, v5
	v_xor_b32_e32 v5, s2, v5
	v_and_b32_e32 v1, v1, v5
	v_lshlrev_b32_e32 v5, 27, v13
	v_cmp_gt_i64_e64 s[2:3], 0, v[4:5]
	v_not_b32_e32 v5, v5
	;; [unrolled: 8-line block ×4, first 2 shown]
	v_ashrrev_i32_e32 v5, 31, v5
	v_and_b32_e32 v0, v0, v6
	v_xor_b32_e32 v6, s3, v5
	v_xor_b32_e32 v5, s2, v5
	v_and_b32_e32 v0, v0, v6
	v_and_b32_e32 v6, v1, v5
	v_lshlrev_b32_e32 v5, 24, v13
	v_not_b32_e32 v1, v5
	v_cmp_gt_i64_e64 s[2:3], 0, v[4:5]
	v_ashrrev_i32_e32 v1, 31, v1
	v_xor_b32_e32 v4, s3, v1
	v_xor_b32_e32 v5, s2, v1
	; wave barrier
	ds_read_b32 v21, v20 offset:16
	v_and_b32_e32 v1, v0, v4
	v_and_b32_e32 v0, v6, v5
	v_mbcnt_lo_u32_b32 v4, v0, 0
	v_mbcnt_hi_u32_b32 v22, v1, v4
	v_cmp_eq_u32_e64 s[2:3], 0, v22
	v_cmp_ne_u64_e64 s[4:5], 0, v[0:1]
	v_and_b32_e32 v16, 0x3c0, v2
	s_and_b64 s[4:5], s[4:5], s[2:3]
	; wave barrier
	s_and_saveexec_b64 s[2:3], s[4:5]
	s_cbranch_execz .LBB2_8
; %bb.7:
	v_bcnt_u32_b32 v0, v0, 0
	v_bcnt_u32_b32 v0, v1, v0
	s_waitcnt lgkmcnt(0)
	v_add_u32_e32 v0, v21, v0
	ds_write_b32 v20, v0 offset:16
.LBB2_8:
	s_or_b64 exec, exec, s[2:3]
	v_and_b32_e32 v1, 1, v12
	v_add_co_u32_e64 v4, s[2:3], -1, v1
	v_addc_co_u32_e64 v5, s[2:3], 0, -1, s[2:3]
	v_mov_b32_e32 v0, 2
	v_cmp_ne_u32_e64 s[2:3], 0, v1
	v_lshlrev_b16_sdwa v0, v0, v12 dst_sel:DWORD dst_unused:UNUSED_PAD src0_sel:DWORD src1_sel:BYTE_0
	v_xor_b32_e32 v1, s3, v5
	v_add_lshl_u32 v23, v9, v0, 2
	v_mov_b32_e32 v0, 0
	v_and_b32_e32 v5, exec_hi, v1
	v_lshlrev_b32_e32 v1, 30, v12
	v_xor_b32_e32 v4, s2, v4
	v_cmp_gt_i64_e64 s[2:3], 0, v[0:1]
	v_not_b32_e32 v1, v1
	v_ashrrev_i32_e32 v1, 31, v1
	v_and_b32_e32 v4, exec_lo, v4
	v_xor_b32_e32 v6, s3, v1
	v_xor_b32_e32 v1, s2, v1
	v_and_b32_e32 v4, v4, v1
	v_lshlrev_b32_e32 v1, 29, v12
	v_cmp_gt_i64_e64 s[2:3], 0, v[0:1]
	v_not_b32_e32 v1, v1
	v_ashrrev_i32_e32 v1, 31, v1
	v_and_b32_e32 v5, v5, v6
	v_xor_b32_e32 v6, s3, v1
	v_xor_b32_e32 v1, s2, v1
	v_and_b32_e32 v4, v4, v1
	v_lshlrev_b32_e32 v1, 28, v12
	v_cmp_gt_i64_e64 s[2:3], 0, v[0:1]
	v_not_b32_e32 v1, v1
	v_ashrrev_i32_e32 v1, 31, v1
	v_and_b32_e32 v5, v5, v6
	;; [unrolled: 8-line block ×5, first 2 shown]
	v_xor_b32_e32 v6, s3, v1
	v_xor_b32_e32 v1, s2, v1
	v_and_b32_e32 v4, v4, v1
	v_lshlrev_b32_e32 v1, 24, v12
	v_cmp_gt_i64_e64 s[2:3], 0, v[0:1]
	v_not_b32_e32 v0, v1
	v_ashrrev_i32_e32 v0, 31, v0
	v_xor_b32_e32 v1, s3, v0
	v_xor_b32_e32 v0, s2, v0
	; wave barrier
	ds_read_b32 v17, v23 offset:16
	v_and_b32_e32 v5, v5, v6
	v_and_b32_e32 v0, v4, v0
	;; [unrolled: 1-line block ×3, first 2 shown]
	v_mbcnt_lo_u32_b32 v4, v0, 0
	v_mbcnt_hi_u32_b32 v25, v1, v4
	v_cmp_eq_u32_e64 s[2:3], 0, v25
	v_cmp_ne_u64_e64 s[4:5], 0, v[0:1]
	v_add_u32_e32 v10, 16, v8
	v_min_u32_e32 v24, 0xc0, v16
	s_and_b64 s[4:5], s[4:5], s[2:3]
	; wave barrier
	s_and_saveexec_b64 s[2:3], s[4:5]
	s_cbranch_execz .LBB2_10
; %bb.9:
	v_bcnt_u32_b32 v0, v0, 0
	v_bcnt_u32_b32 v0, v1, v0
	s_waitcnt lgkmcnt(0)
	v_add_u32_e32 v0, v17, v0
	ds_write_b32 v23, v0 offset:16
.LBB2_10:
	s_or_b64 exec, exec, s[2:3]
	; wave barrier
	s_waitcnt lgkmcnt(0)
	s_barrier
	ds_read2_b32 v[4:5], v8 offset0:4 offset1:5
	ds_read2_b32 v[6:7], v10 offset0:2 offset1:3
	v_and_b32_e32 v1, 16, v15
	v_cmp_eq_u32_e64 s[30:31], 0, v1
	v_or_b32_e32 v1, 63, v24
	v_cmp_eq_u32_e64 s[8:9], v1, v2
	s_waitcnt lgkmcnt(1)
	v_add_u32_e32 v1, v5, v4
	v_and_b32_e32 v0, 15, v15
	s_waitcnt lgkmcnt(0)
	v_add3_u32 v1, v1, v6, v7
	v_cmp_eq_u32_e64 s[14:15], 0, v0
	v_cmp_lt_u32_e64 s[16:17], 1, v0
	v_mov_b32_dpp v7, v1 row_shr:1 row_mask:0xf bank_mask:0xf
	v_cndmask_b32_e64 v7, v7, 0, s[14:15]
	v_add_u32_e32 v1, v7, v1
	v_cmp_lt_u32_e64 s[20:21], 3, v0
	v_cmp_lt_u32_e64 s[22:23], 7, v0
	v_mov_b32_dpp v7, v1 row_shr:2 row_mask:0xf bank_mask:0xf
	v_cndmask_b32_e64 v7, 0, v7, s[16:17]
	v_add_u32_e32 v1, v1, v7
	v_bfe_i32 v26, v15, 4, 1
	v_cmp_lt_u32_e64 s[24:25], 31, v15
	v_mov_b32_dpp v7, v1 row_shr:4 row_mask:0xf bank_mask:0xf
	v_cndmask_b32_e64 v7, 0, v7, s[20:21]
	v_add_u32_e32 v1, v1, v7
	v_lshlrev_b32_e32 v11, 2, v11
	s_nop 0
	v_mov_b32_dpp v7, v1 row_shr:8 row_mask:0xf bank_mask:0xf
	v_cndmask_b32_e64 v0, 0, v7, s[22:23]
	v_add_u32_e32 v0, v1, v0
	s_nop 1
	v_mov_b32_dpp v1, v0 row_bcast:15 row_mask:0xf bank_mask:0xf
	v_and_b32_e32 v1, v26, v1
	v_add_u32_e32 v0, v0, v1
	s_nop 1
	v_mov_b32_dpp v1, v0 row_bcast:31 row_mask:0xf bank_mask:0xf
	v_cndmask_b32_e64 v1, 0, v1, s[24:25]
	v_add_u32_e32 v1, v0, v1
	s_and_saveexec_b64 s[2:3], s[8:9]
	s_cbranch_execz .LBB2_12
; %bb.11:
	ds_write_b32 v11, v1
.LBB2_12:
	s_or_b64 exec, exec, s[2:3]
	v_and_b32_e32 v0, 3, v15
	v_cmp_gt_u32_e64 s[18:19], 4, v2
	v_lshlrev_b32_e32 v7, 2, v2
	v_cmp_eq_u32_e64 s[12:13], 0, v0
	v_cmp_lt_u32_e64 s[10:11], 1, v0
	s_waitcnt lgkmcnt(0)
	s_barrier
	s_and_saveexec_b64 s[2:3], s[18:19]
	s_cbranch_execz .LBB2_14
; %bb.13:
	ds_read_b32 v0, v7
	s_waitcnt lgkmcnt(0)
	s_nop 0
	v_mov_b32_dpp v24, v0 row_shr:1 row_mask:0xf bank_mask:0xf
	v_cndmask_b32_e64 v24, v24, 0, s[12:13]
	v_add_u32_e32 v0, v24, v0
	s_nop 1
	v_mov_b32_dpp v24, v0 row_shr:2 row_mask:0xf bank_mask:0xf
	v_cndmask_b32_e64 v24, 0, v24, s[10:11]
	v_add_u32_e32 v0, v0, v24
	ds_write_b32 v7, v0
.LBB2_14:
	s_or_b64 exec, exec, s[2:3]
	v_mad_u32_u24 v24, v16, 3, v15
	v_cmp_lt_u32_e64 s[26:27], 63, v2
	v_add_u32_e32 v16, -4, v11
	v_mov_b32_e32 v0, 0
	v_mov_b32_e32 v26, 0
	s_waitcnt lgkmcnt(0)
	s_barrier
	s_and_saveexec_b64 s[2:3], s[26:27]
	s_cbranch_execz .LBB2_16
; %bb.15:
	ds_read_b32 v26, v16
.LBB2_16:
	s_or_b64 exec, exec, s[2:3]
	v_add_u32_e32 v25, v25, v17
	v_add_u32_e32 v17, -1, v15
	v_and_b32_e32 v27, 64, v15
	v_cmp_lt_i32_e64 s[2:3], v17, v27
	v_cndmask_b32_e64 v17, v17, v15, s[2:3]
	v_lshlrev_b32_e32 v17, 2, v17
	s_waitcnt lgkmcnt(0)
	v_add_u32_e32 v1, v26, v1
	ds_bpermute_b32 v1, v17, v1
	v_cmp_eq_u32_e64 s[28:29], 0, v15
	v_cmp_eq_u32_e64 s[2:3], 0, v2
	v_add_u32_e32 v21, v22, v21
	v_lshlrev_b32_e32 v22, 1, v24
	s_waitcnt lgkmcnt(0)
	v_cndmask_b32_e64 v1, v1, v26, s[28:29]
	v_cndmask_b32_e64 v1, v1, 0, s[2:3]
	v_add_u32_e32 v4, v1, v4
	v_add_u32_e32 v5, v4, v5
	;; [unrolled: 1-line block ×3, first 2 shown]
	ds_write2_b32 v8, v1, v4 offset0:4 offset1:5
	ds_write2_b32 v10, v5, v6 offset0:2 offset1:3
	s_waitcnt lgkmcnt(0)
	s_barrier
	ds_read_b32 v1, v18 offset:16
	ds_read_b32 v4, v20 offset:16
	;; [unrolled: 1-line block ×3, first 2 shown]
	s_waitcnt lgkmcnt(0)
	s_barrier
	v_add_lshl_u32 v1, v1, v19, 1
	ds_write_b16 v1, v14
	v_add_lshl_u32 v1, v21, v4, 1
	ds_write_b16 v1, v13
	;; [unrolled: 2-line block ×3, first 2 shown]
	s_waitcnt lgkmcnt(0)
	s_barrier
	ds_read_u16 v13, v22
	ds_read_u16 v12, v22 offset:128
	ds_read_u16 v6, v22 offset:256
	v_mov_b32_e32 v18, 2
	v_mov_b32_e32 v5, 1
	s_waitcnt lgkmcnt(2)
	v_lshlrev_b16_sdwa v1, v18, v13 dst_sel:DWORD dst_unused:UNUSED_PAD src0_sel:DWORD src1_sel:BYTE_1
	v_add_lshl_u32 v14, v9, v1, 2
	v_and_b32_sdwa v1, v13, v5 dst_sel:DWORD dst_unused:UNUSED_PAD src0_sel:BYTE_1 src1_sel:DWORD
	v_add_co_u32_e64 v4, s[34:35], -1, v1
	v_addc_co_u32_e64 v15, s[34:35], 0, -1, s[34:35]
	v_cmp_ne_u32_e64 s[34:35], 0, v1
	v_xor_b32_e32 v4, s34, v4
	v_xor_b32_e32 v1, s35, v15
	v_and_b32_e32 v19, exec_lo, v4
	v_mov_b32_e32 v4, 30
	v_and_b32_e32 v15, exec_hi, v1
	v_lshlrev_b32_sdwa v1, v4, v13 dst_sel:DWORD dst_unused:UNUSED_PAD src0_sel:DWORD src1_sel:BYTE_1
	v_cmp_gt_i64_e64 s[34:35], 0, v[0:1]
	v_not_b32_e32 v1, v1
	v_ashrrev_i32_e32 v1, 31, v1
	v_xor_b32_e32 v20, s35, v1
	v_xor_b32_e32 v1, s34, v1
	v_and_b32_e32 v15, v15, v20
	v_mov_b32_e32 v20, 29
	v_and_b32_e32 v19, v19, v1
	v_lshlrev_b32_sdwa v1, v20, v13 dst_sel:DWORD dst_unused:UNUSED_PAD src0_sel:DWORD src1_sel:BYTE_1
	v_cmp_gt_i64_e64 s[34:35], 0, v[0:1]
	v_not_b32_e32 v1, v1
	v_ashrrev_i32_e32 v1, 31, v1
	v_xor_b32_e32 v21, s35, v1
	v_xor_b32_e32 v1, s34, v1
	v_and_b32_e32 v15, v15, v21
	v_mov_b32_e32 v21, 28
	v_and_b32_e32 v19, v19, v1
	;; [unrolled: 9-line block ×6, first 2 shown]
	v_lshlrev_b32_sdwa v1, v25, v13 dst_sel:DWORD dst_unused:UNUSED_PAD src0_sel:DWORD src1_sel:BYTE_1
	s_waitcnt lgkmcnt(0)
	s_barrier
	ds_write2_b32 v8, v0, v0 offset0:4 offset1:5
	ds_write2_b32 v10, v0, v0 offset0:2 offset1:3
	v_cmp_gt_i64_e64 s[34:35], 0, v[0:1]
	v_not_b32_e32 v0, v1
	v_ashrrev_i32_e32 v0, 31, v0
	v_xor_b32_e32 v1, s35, v0
	v_xor_b32_e32 v0, s34, v0
	v_and_b32_e32 v0, v19, v0
	v_and_b32_e32 v1, v15, v1
	v_mbcnt_lo_u32_b32 v15, v0, 0
	v_mbcnt_hi_u32_b32 v15, v1, v15
	v_cmp_eq_u32_e64 s[34:35], 0, v15
	v_cmp_ne_u64_e64 s[36:37], 0, v[0:1]
	v_cmp_ne_u32_e64 s[4:5], 0, v2
	s_and_b64 s[36:37], s[36:37], s[34:35]
	s_waitcnt lgkmcnt(0)
	s_barrier
	s_waitcnt lgkmcnt(0)
	; wave barrier
	s_and_saveexec_b64 s[34:35], s[36:37]
	s_cbranch_execz .LBB2_18
; %bb.17:
	v_bcnt_u32_b32 v0, v0, 0
	v_bcnt_u32_b32 v0, v1, v0
	ds_write_b32 v14, v0 offset:16
.LBB2_18:
	s_or_b64 exec, exec, s[34:35]
	v_and_b32_sdwa v1, v12, v5 dst_sel:DWORD dst_unused:UNUSED_PAD src0_sel:BYTE_1 src1_sel:DWORD
	v_add_co_u32_e64 v5, s[34:35], -1, v1
	v_addc_co_u32_e64 v26, s[34:35], 0, -1, s[34:35]
	v_cmp_ne_u32_e64 s[34:35], 0, v1
	v_lshlrev_b16_sdwa v0, v18, v12 dst_sel:DWORD dst_unused:UNUSED_PAD src0_sel:DWORD src1_sel:BYTE_1
	v_xor_b32_e32 v1, s35, v26
	v_add_lshl_u32 v19, v9, v0, 2
	v_mov_b32_e32 v0, 0
	v_and_b32_e32 v26, exec_hi, v1
	v_lshlrev_b32_sdwa v1, v4, v12 dst_sel:DWORD dst_unused:UNUSED_PAD src0_sel:DWORD src1_sel:BYTE_1
	v_xor_b32_e32 v5, s34, v5
	v_cmp_gt_i64_e64 s[34:35], 0, v[0:1]
	v_not_b32_e32 v1, v1
	v_ashrrev_i32_e32 v1, 31, v1
	v_and_b32_e32 v5, exec_lo, v5
	v_xor_b32_e32 v4, s35, v1
	v_xor_b32_e32 v1, s34, v1
	v_and_b32_e32 v5, v5, v1
	v_lshlrev_b32_sdwa v1, v20, v12 dst_sel:DWORD dst_unused:UNUSED_PAD src0_sel:DWORD src1_sel:BYTE_1
	v_cmp_gt_i64_e64 s[34:35], 0, v[0:1]
	v_not_b32_e32 v1, v1
	v_ashrrev_i32_e32 v1, 31, v1
	v_xor_b32_e32 v20, s35, v1
	v_xor_b32_e32 v1, s34, v1
	v_and_b32_e32 v5, v5, v1
	v_lshlrev_b32_sdwa v1, v21, v12 dst_sel:DWORD dst_unused:UNUSED_PAD src0_sel:DWORD src1_sel:BYTE_1
	v_cmp_gt_i64_e64 s[34:35], 0, v[0:1]
	v_not_b32_e32 v1, v1
	v_and_b32_e32 v4, v26, v4
	v_ashrrev_i32_e32 v1, 31, v1
	v_and_b32_e32 v4, v4, v20
	v_xor_b32_e32 v20, s35, v1
	v_xor_b32_e32 v1, s34, v1
	v_and_b32_e32 v5, v5, v1
	v_lshlrev_b32_sdwa v1, v22, v12 dst_sel:DWORD dst_unused:UNUSED_PAD src0_sel:DWORD src1_sel:BYTE_1
	v_cmp_gt_i64_e64 s[34:35], 0, v[0:1]
	v_not_b32_e32 v1, v1
	v_ashrrev_i32_e32 v1, 31, v1
	v_and_b32_e32 v4, v4, v20
	v_xor_b32_e32 v20, s35, v1
	v_xor_b32_e32 v1, s34, v1
	v_and_b32_e32 v5, v5, v1
	v_lshlrev_b32_sdwa v1, v23, v12 dst_sel:DWORD dst_unused:UNUSED_PAD src0_sel:DWORD src1_sel:BYTE_1
	v_cmp_gt_i64_e64 s[34:35], 0, v[0:1]
	v_not_b32_e32 v1, v1
	v_ashrrev_i32_e32 v1, 31, v1
	v_and_b32_e32 v4, v4, v20
	v_xor_b32_e32 v20, s35, v1
	v_xor_b32_e32 v1, s34, v1
	v_and_b32_e32 v5, v5, v1
	v_lshlrev_b32_sdwa v1, v24, v12 dst_sel:DWORD dst_unused:UNUSED_PAD src0_sel:DWORD src1_sel:BYTE_1
	v_cmp_gt_i64_e64 s[34:35], 0, v[0:1]
	v_not_b32_e32 v1, v1
	v_ashrrev_i32_e32 v1, 31, v1
	v_and_b32_e32 v4, v4, v20
	v_xor_b32_e32 v20, s35, v1
	v_xor_b32_e32 v1, s34, v1
	v_and_b32_e32 v4, v4, v20
	v_and_b32_e32 v20, v5, v1
	v_lshlrev_b32_sdwa v1, v25, v12 dst_sel:DWORD dst_unused:UNUSED_PAD src0_sel:DWORD src1_sel:BYTE_1
	v_cmp_gt_i64_e64 s[34:35], 0, v[0:1]
	v_not_b32_e32 v1, v1
	v_ashrrev_i32_e32 v1, 31, v1
	v_xor_b32_e32 v5, s35, v1
	v_xor_b32_e32 v1, s34, v1
	; wave barrier
	ds_read_b32 v18, v19 offset:16
	v_and_b32_e32 v5, v4, v5
	v_and_b32_e32 v4, v20, v1
	v_mbcnt_lo_u32_b32 v1, v4, 0
	v_mbcnt_hi_u32_b32 v20, v5, v1
	v_cmp_eq_u32_e64 s[34:35], 0, v20
	v_cmp_ne_u64_e64 s[36:37], 0, v[4:5]
	s_and_b64 s[36:37], s[36:37], s[34:35]
	; wave barrier
	s_and_saveexec_b64 s[34:35], s[36:37]
	s_cbranch_execz .LBB2_20
; %bb.19:
	v_bcnt_u32_b32 v1, v4, 0
	v_bcnt_u32_b32 v1, v5, v1
	s_waitcnt lgkmcnt(0)
	v_add_u32_e32 v1, v18, v1
	ds_write_b32 v19, v1 offset:16
.LBB2_20:
	s_or_b64 exec, exec, s[34:35]
	v_mov_b32_e32 v1, 2
	v_lshlrev_b16_sdwa v1, v1, v6 dst_sel:DWORD dst_unused:UNUSED_PAD src0_sel:DWORD src1_sel:BYTE_1
	v_add_lshl_u32 v9, v9, v1, 2
	v_mov_b32_e32 v1, 1
	v_and_b32_sdwa v1, v6, v1 dst_sel:DWORD dst_unused:UNUSED_PAD src0_sel:BYTE_1 src1_sel:DWORD
	v_add_co_u32_e64 v4, s[34:35], -1, v1
	v_addc_co_u32_e64 v5, s[34:35], 0, -1, s[34:35]
	v_cmp_ne_u32_e64 s[34:35], 0, v1
	v_xor_b32_e32 v1, s35, v5
	v_and_b32_e32 v5, exec_hi, v1
	v_mov_b32_e32 v1, 30
	v_lshlrev_b32_sdwa v1, v1, v6 dst_sel:DWORD dst_unused:UNUSED_PAD src0_sel:DWORD src1_sel:BYTE_1
	v_xor_b32_e32 v4, s34, v4
	v_cmp_gt_i64_e64 s[34:35], 0, v[0:1]
	v_not_b32_e32 v1, v1
	v_ashrrev_i32_e32 v1, 31, v1
	v_and_b32_e32 v4, exec_lo, v4
	v_xor_b32_e32 v22, s35, v1
	v_xor_b32_e32 v1, s34, v1
	v_and_b32_e32 v4, v4, v1
	v_mov_b32_e32 v1, 29
	v_lshlrev_b32_sdwa v1, v1, v6 dst_sel:DWORD dst_unused:UNUSED_PAD src0_sel:DWORD src1_sel:BYTE_1
	v_cmp_gt_i64_e64 s[34:35], 0, v[0:1]
	v_not_b32_e32 v1, v1
	v_ashrrev_i32_e32 v1, 31, v1
	v_and_b32_e32 v5, v5, v22
	v_xor_b32_e32 v22, s35, v1
	v_xor_b32_e32 v1, s34, v1
	v_and_b32_e32 v4, v4, v1
	v_mov_b32_e32 v1, 28
	v_lshlrev_b32_sdwa v1, v1, v6 dst_sel:DWORD dst_unused:UNUSED_PAD src0_sel:DWORD src1_sel:BYTE_1
	v_cmp_gt_i64_e64 s[34:35], 0, v[0:1]
	v_not_b32_e32 v1, v1
	v_ashrrev_i32_e32 v1, 31, v1
	v_and_b32_e32 v5, v5, v22
	;; [unrolled: 9-line block ×5, first 2 shown]
	v_xor_b32_e32 v22, s35, v1
	v_xor_b32_e32 v1, s34, v1
	v_and_b32_e32 v4, v4, v1
	v_mov_b32_e32 v1, 24
	v_lshlrev_b32_sdwa v1, v1, v6 dst_sel:DWORD dst_unused:UNUSED_PAD src0_sel:DWORD src1_sel:BYTE_1
	v_cmp_gt_i64_e64 s[34:35], 0, v[0:1]
	v_not_b32_e32 v0, v1
	v_ashrrev_i32_e32 v0, 31, v0
	v_xor_b32_e32 v1, s35, v0
	v_xor_b32_e32 v0, s34, v0
	; wave barrier
	ds_read_b32 v21, v9 offset:16
	v_and_b32_e32 v5, v5, v22
	v_and_b32_e32 v0, v4, v0
	v_and_b32_e32 v1, v5, v1
	v_mbcnt_lo_u32_b32 v4, v0, 0
	v_mbcnt_hi_u32_b32 v22, v1, v4
	v_cmp_eq_u32_e64 s[34:35], 0, v22
	v_cmp_ne_u64_e64 s[36:37], 0, v[0:1]
	s_and_b64 s[36:37], s[36:37], s[34:35]
	; wave barrier
	s_and_saveexec_b64 s[34:35], s[36:37]
	s_cbranch_execz .LBB2_22
; %bb.21:
	v_bcnt_u32_b32 v0, v0, 0
	v_bcnt_u32_b32 v0, v1, v0
	s_waitcnt lgkmcnt(0)
	v_add_u32_e32 v0, v21, v0
	ds_write_b32 v9, v0 offset:16
.LBB2_22:
	s_or_b64 exec, exec, s[34:35]
	; wave barrier
	s_waitcnt lgkmcnt(0)
	s_barrier
	ds_read2_b32 v[4:5], v8 offset0:4 offset1:5
	ds_read2_b32 v[0:1], v10 offset0:2 offset1:3
	s_waitcnt lgkmcnt(1)
	v_add_u32_e32 v23, v5, v4
	s_waitcnt lgkmcnt(0)
	v_add3_u32 v1, v23, v0, v1
	s_nop 1
	v_mov_b32_dpp v23, v1 row_shr:1 row_mask:0xf bank_mask:0xf
	v_cndmask_b32_e64 v23, v23, 0, s[14:15]
	v_add_u32_e32 v1, v23, v1
	s_nop 1
	v_mov_b32_dpp v23, v1 row_shr:2 row_mask:0xf bank_mask:0xf
	v_cndmask_b32_e64 v23, 0, v23, s[16:17]
	v_add_u32_e32 v1, v1, v23
	;; [unrolled: 4-line block ×4, first 2 shown]
	s_nop 1
	v_mov_b32_dpp v23, v1 row_bcast:15 row_mask:0xf bank_mask:0xf
	v_cndmask_b32_e64 v23, v23, 0, s[30:31]
	v_add_u32_e32 v1, v1, v23
	s_nop 1
	v_mov_b32_dpp v23, v1 row_bcast:31 row_mask:0xf bank_mask:0xf
	v_cndmask_b32_e64 v23, 0, v23, s[24:25]
	v_add_u32_e32 v1, v1, v23
	s_and_saveexec_b64 s[14:15], s[8:9]
	s_cbranch_execz .LBB2_24
; %bb.23:
	ds_write_b32 v11, v1
.LBB2_24:
	s_or_b64 exec, exec, s[14:15]
	s_waitcnt lgkmcnt(0)
	s_barrier
	s_and_saveexec_b64 s[8:9], s[18:19]
	s_cbranch_execz .LBB2_26
; %bb.25:
	ds_read_b32 v11, v7
	s_waitcnt lgkmcnt(0)
	s_nop 0
	v_mov_b32_dpp v23, v11 row_shr:1 row_mask:0xf bank_mask:0xf
	v_cndmask_b32_e64 v23, v23, 0, s[12:13]
	v_add_u32_e32 v11, v23, v11
	s_nop 1
	v_mov_b32_dpp v23, v11 row_shr:2 row_mask:0xf bank_mask:0xf
	v_cndmask_b32_e64 v23, 0, v23, s[10:11]
	v_add_u32_e32 v11, v11, v23
	ds_write_b32 v7, v11
.LBB2_26:
	s_or_b64 exec, exec, s[8:9]
	v_mov_b32_e32 v11, 0
	s_waitcnt lgkmcnt(0)
	s_barrier
	s_and_saveexec_b64 s[8:9], s[26:27]
	s_cbranch_execz .LBB2_28
; %bb.27:
	ds_read_b32 v11, v16
.LBB2_28:
	s_or_b64 exec, exec, s[8:9]
	s_waitcnt lgkmcnt(0)
	v_add_u32_e32 v1, v11, v1
	ds_bpermute_b32 v1, v17, v1
	s_waitcnt lgkmcnt(0)
	v_cndmask_b32_e64 v1, v1, v11, s[28:29]
	v_cndmask_b32_e64 v1, v1, 0, s[2:3]
	v_add_u32_e32 v4, v1, v4
	v_add_u32_e32 v5, v4, v5
	;; [unrolled: 1-line block ×3, first 2 shown]
	ds_write2_b32 v8, v1, v4 offset0:4 offset1:5
	ds_write2_b32 v10, v5, v0 offset0:2 offset1:3
	s_waitcnt lgkmcnt(0)
	s_barrier
	ds_read_b32 v1, v9 offset:16
	ds_read_b32 v4, v19 offset:16
	;; [unrolled: 1-line block ×3, first 2 shown]
	v_add_u32_e32 v0, v22, v21
	v_add_u32_e32 v8, v20, v18
	s_waitcnt lgkmcnt(2)
	v_add_lshl_u32 v0, v0, v1, 1
	v_mul_u32_u24_e32 v1, 3, v2
	s_waitcnt lgkmcnt(0)
	v_add_lshl_u32 v5, v5, v15, 1
	s_barrier
	ds_write_b16 v5, v13
	v_add_lshl_u32 v4, v8, v4, 1
	v_lshlrev_b32_e32 v5, 1, v1
	ds_write_b16 v4, v12
	ds_write_b16 v0, v6
	s_waitcnt lgkmcnt(0)
	s_barrier
	ds_read_u16 v0, v5
	ds_read_u16 v4, v5 offset:2
	ds_read_u16 v5, v5 offset:4
	s_waitcnt lgkmcnt(0)
	s_barrier
	s_and_saveexec_b64 s[10:11], s[0:1]
	s_cbranch_execz .LBB2_31
; %bb.29:
	v_add_u32_e32 v6, 0x400, v7
	s_mov_b64 s[12:13], 0
	v_mov_b32_e32 v8, 0x300
	s_movk_i32 s7, 0x1ff
	v_mov_b32_e32 v9, v2
.LBB2_30:                               ; =>This Inner Loop Header: Depth=1
	v_add_u32_e32 v9, 0x100, v9
	v_cmp_lt_u32_e64 s[8:9], s7, v9
	ds_write2st64_b32 v6, v8, v8 offset1:8
	s_or_b64 s[12:13], s[8:9], s[12:13]
	v_add_u32_e32 v6, 0x400, v6
	s_andn2_b64 exec, exec, s[12:13]
	s_cbranch_execnz .LBB2_30
.LBB2_31:
	s_or_b64 exec, exec, s[10:11]
	v_cmp_ne_u16_e64 s[8:9], v4, v5
	s_waitcnt lgkmcnt(0)
	s_barrier
	ds_write_b16 v3, v5
	s_and_saveexec_b64 s[10:11], s[8:9]
	s_cbranch_execz .LBB2_33
; %bb.32:
	v_mov_b32_e32 v8, 2
	v_add_u32_e32 v6, 2, v1
	v_lshlrev_b32_sdwa v5, v8, v5 dst_sel:DWORD dst_unused:UNUSED_PAD src0_sel:DWORD src1_sel:WORD_0
	v_lshlrev_b32_sdwa v9, v8, v4 dst_sel:DWORD dst_unused:UNUSED_PAD src0_sel:DWORD src1_sel:WORD_0
	ds_write_b32 v5, v6 offset:1024
	ds_write_b32 v9, v6 offset:3072
.LBB2_33:
	s_or_b64 exec, exec, s[10:11]
	v_cmp_ne_u16_e64 s[8:9], v0, v4
	s_and_saveexec_b64 s[10:11], s[8:9]
	s_cbranch_execz .LBB2_35
; %bb.34:
	v_mov_b32_e32 v6, 2
	v_add_u32_e32 v5, 1, v1
	v_lshlrev_b32_sdwa v4, v6, v4 dst_sel:DWORD dst_unused:UNUSED_PAD src0_sel:DWORD src1_sel:WORD_0
	v_lshlrev_b32_sdwa v8, v6, v0 dst_sel:DWORD dst_unused:UNUSED_PAD src0_sel:DWORD src1_sel:WORD_0
	ds_write_b32 v4, v5 offset:1024
	ds_write_b32 v8, v5 offset:3072
.LBB2_35:
	s_or_b64 exec, exec, s[10:11]
	s_waitcnt lgkmcnt(0)
	s_barrier
	s_and_saveexec_b64 s[8:9], s[4:5]
	s_cbranch_execz .LBB2_38
; %bb.36:
	v_add_u32_e32 v4, -2, v3
	ds_read_u16 v5, v4
	s_waitcnt lgkmcnt(0)
	v_cmp_ne_u16_e64 s[4:5], v5, v0
	s_and_b64 exec, exec, s[4:5]
	s_cbranch_execz .LBB2_38
; %bb.37:
	v_mov_b32_e32 v5, 2
	v_lshlrev_b32_sdwa v5, v5, v0 dst_sel:DWORD dst_unused:UNUSED_PAD src0_sel:DWORD src1_sel:WORD_0
	ds_write_b32 v5, v1 offset:1024
	ds_read_u16 v4, v4
	s_waitcnt lgkmcnt(0)
	v_lshlrev_b32_e32 v4, 2, v4
	ds_write_b32 v4, v1 offset:3072
.LBB2_38:
	s_or_b64 exec, exec, s[8:9]
	s_waitcnt lgkmcnt(0)
	s_barrier
	s_and_saveexec_b64 s[4:5], s[2:3]
	s_cbranch_execz .LBB2_40
; %bb.39:
	v_mov_b32_e32 v1, 2
	v_lshlrev_b32_sdwa v0, v1, v0 dst_sel:DWORD dst_unused:UNUSED_PAD src0_sel:DWORD src1_sel:WORD_0
	v_mov_b32_e32 v1, 0
	ds_write_b32 v0, v1 offset:1024
.LBB2_40:
	s_or_b64 exec, exec, s[4:5]
	s_waitcnt lgkmcnt(0)
	s_barrier
	s_and_saveexec_b64 s[2:3], s[0:1]
	s_cbranch_execz .LBB2_42
; %bb.41:
	ds_read2st64_b32 v[0:1], v7 offset0:4 offset1:12
	ds_read_u16 v4, v3 offset:5120
	s_waitcnt lgkmcnt(1)
	v_sub_u32_e32 v0, v1, v0
	s_waitcnt lgkmcnt(0)
	v_add_u16_e32 v0, v4, v0
	ds_write_b16 v3, v0 offset:5120
.LBB2_42:
	s_or_b64 exec, exec, s[2:3]
	s_and_saveexec_b64 s[2:3], vcc
	s_cbranch_execz .LBB2_44
; %bb.43:
	ds_read2st64_b32 v[0:1], v7 offset0:8 offset1:16
	ds_read_u16 v4, v3 offset:5632
	s_waitcnt lgkmcnt(1)
	v_sub_u32_e32 v0, v1, v0
	s_waitcnt lgkmcnt(0)
	v_add_u16_e32 v0, v4, v0
	ds_write_b16 v3, v0 offset:5632
.LBB2_44:
	s_or_b64 exec, exec, s[2:3]
	s_lshl_b32 s4, s6, 9
	v_mov_b32_e32 v0, s4
	s_waitcnt lgkmcnt(0)
	s_barrier
	s_and_saveexec_b64 s[2:3], s[0:1]
	s_cbranch_execnz .LBB2_47
; %bb.45:
	s_or_b64 exec, exec, s[2:3]
	s_and_saveexec_b64 s[0:1], vcc
	s_cbranch_execnz .LBB2_48
.LBB2_46:
	s_endpgm
.LBB2_47:
	ds_read_u16 v5, v3 offset:5120
	v_or_b32_e32 v0, s4, v2
	v_mov_b32_e32 v1, 0
	v_lshlrev_b64 v[0:1], 1, v[0:1]
	v_mov_b32_e32 v4, s39
	v_add_co_u32_e64 v0, s[0:1], s38, v0
	s_or_b32 s5, s4, 0x100
	v_addc_co_u32_e64 v1, s[0:1], v4, v1, s[0:1]
	s_waitcnt lgkmcnt(0)
	global_store_short v[0:1], v5, off
	v_mov_b32_e32 v0, s5
	s_or_b64 exec, exec, s[2:3]
	s_and_saveexec_b64 s[0:1], vcc
	s_cbranch_execz .LBB2_46
.LBB2_48:
	ds_read_u16 v3, v3 offset:5632
	v_add_u32_e32 v0, v0, v2
	v_mov_b32_e32 v1, 0
	v_lshlrev_b64 v[0:1], 1, v[0:1]
	v_mov_b32_e32 v2, s39
	v_add_co_u32_e32 v0, vcc, s38, v0
	v_addc_co_u32_e32 v1, vcc, v2, v1, vcc
	s_waitcnt lgkmcnt(0)
	global_store_short v[0:1], v3, off
	s_endpgm
	.section	.rodata,"a",@progbits
	.p2align	6, 0x0
	.amdhsa_kernel _Z16histogram_kernelILj256ELj3ELj512ELN6hipcub23BlockHistogramAlgorithmE1EtEvPT3_S3_
		.amdhsa_group_segment_fixed_size 6144
		.amdhsa_private_segment_fixed_size 0
		.amdhsa_kernarg_size 272
		.amdhsa_user_sgpr_count 6
		.amdhsa_user_sgpr_private_segment_buffer 1
		.amdhsa_user_sgpr_dispatch_ptr 0
		.amdhsa_user_sgpr_queue_ptr 0
		.amdhsa_user_sgpr_kernarg_segment_ptr 1
		.amdhsa_user_sgpr_dispatch_id 0
		.amdhsa_user_sgpr_flat_scratch_init 0
		.amdhsa_user_sgpr_kernarg_preload_length 0
		.amdhsa_user_sgpr_kernarg_preload_offset 0
		.amdhsa_user_sgpr_private_segment_size 0
		.amdhsa_uses_dynamic_stack 0
		.amdhsa_system_sgpr_private_segment_wavefront_offset 0
		.amdhsa_system_sgpr_workgroup_id_x 1
		.amdhsa_system_sgpr_workgroup_id_y 0
		.amdhsa_system_sgpr_workgroup_id_z 0
		.amdhsa_system_sgpr_workgroup_info 0
		.amdhsa_system_vgpr_workitem_id 2
		.amdhsa_next_free_vgpr 28
		.amdhsa_next_free_sgpr 40
		.amdhsa_accum_offset 28
		.amdhsa_reserve_vcc 1
		.amdhsa_reserve_flat_scratch 0
		.amdhsa_float_round_mode_32 0
		.amdhsa_float_round_mode_16_64 0
		.amdhsa_float_denorm_mode_32 3
		.amdhsa_float_denorm_mode_16_64 3
		.amdhsa_dx10_clamp 1
		.amdhsa_ieee_mode 1
		.amdhsa_fp16_overflow 0
		.amdhsa_tg_split 0
		.amdhsa_exception_fp_ieee_invalid_op 0
		.amdhsa_exception_fp_denorm_src 0
		.amdhsa_exception_fp_ieee_div_zero 0
		.amdhsa_exception_fp_ieee_overflow 0
		.amdhsa_exception_fp_ieee_underflow 0
		.amdhsa_exception_fp_ieee_inexact 0
		.amdhsa_exception_int_div_zero 0
	.end_amdhsa_kernel
	.section	.text._Z16histogram_kernelILj256ELj3ELj512ELN6hipcub23BlockHistogramAlgorithmE1EtEvPT3_S3_,"axG",@progbits,_Z16histogram_kernelILj256ELj3ELj512ELN6hipcub23BlockHistogramAlgorithmE1EtEvPT3_S3_,comdat
.Lfunc_end2:
	.size	_Z16histogram_kernelILj256ELj3ELj512ELN6hipcub23BlockHistogramAlgorithmE1EtEvPT3_S3_, .Lfunc_end2-_Z16histogram_kernelILj256ELj3ELj512ELN6hipcub23BlockHistogramAlgorithmE1EtEvPT3_S3_
                                        ; -- End function
	.section	.AMDGPU.csdata,"",@progbits
; Kernel info:
; codeLenInByte = 4916
; NumSgprs: 44
; NumVgprs: 28
; NumAgprs: 0
; TotalNumVgprs: 28
; ScratchSize: 0
; MemoryBound: 0
; FloatMode: 240
; IeeeMode: 1
; LDSByteSize: 6144 bytes/workgroup (compile time only)
; SGPRBlocks: 5
; VGPRBlocks: 3
; NumSGPRsForWavesPerEU: 44
; NumVGPRsForWavesPerEU: 28
; AccumOffset: 28
; Occupancy: 8
; WaveLimiterHint : 0
; COMPUTE_PGM_RSRC2:SCRATCH_EN: 0
; COMPUTE_PGM_RSRC2:USER_SGPR: 6
; COMPUTE_PGM_RSRC2:TRAP_HANDLER: 0
; COMPUTE_PGM_RSRC2:TGID_X_EN: 1
; COMPUTE_PGM_RSRC2:TGID_Y_EN: 0
; COMPUTE_PGM_RSRC2:TGID_Z_EN: 0
; COMPUTE_PGM_RSRC2:TIDIG_COMP_CNT: 2
; COMPUTE_PGM_RSRC3_GFX90A:ACCUM_OFFSET: 6
; COMPUTE_PGM_RSRC3_GFX90A:TG_SPLIT: 0
	.section	.text._Z16histogram_kernelILj32ELj2ELj64ELN6hipcub23BlockHistogramAlgorithmE1EtEvPT3_S3_,"axG",@progbits,_Z16histogram_kernelILj32ELj2ELj64ELN6hipcub23BlockHistogramAlgorithmE1EtEvPT3_S3_,comdat
	.protected	_Z16histogram_kernelILj32ELj2ELj64ELN6hipcub23BlockHistogramAlgorithmE1EtEvPT3_S3_ ; -- Begin function _Z16histogram_kernelILj32ELj2ELj64ELN6hipcub23BlockHistogramAlgorithmE1EtEvPT3_S3_
	.globl	_Z16histogram_kernelILj32ELj2ELj64ELN6hipcub23BlockHistogramAlgorithmE1EtEvPT3_S3_
	.p2align	8
	.type	_Z16histogram_kernelILj32ELj2ELj64ELN6hipcub23BlockHistogramAlgorithmE1EtEvPT3_S3_,@function
_Z16histogram_kernelILj32ELj2ELj64ELN6hipcub23BlockHistogramAlgorithmE1EtEvPT3_S3_: ; @_Z16histogram_kernelILj32ELj2ELj64ELN6hipcub23BlockHistogramAlgorithmE1EtEvPT3_S3_
; %bb.0:
	s_load_dwordx4 s[20:23], s[4:5], 0x0
	s_lshl_b32 s30, s6, 6
	v_lshlrev_b32_e32 v10, 1, v0
	v_or_b32_e32 v2, s30, v10
	v_mov_b32_e32 v3, 0
	v_lshlrev_b64 v[4:5], 1, v[2:3]
	s_waitcnt lgkmcnt(0)
	v_mov_b32_e32 v1, s21
	v_add_co_u32_e32 v4, vcc, s20, v4
	v_addc_co_u32_e32 v5, vcc, v1, v5, vcc
	global_load_dword v11, v[4:5], off
	v_cmp_gt_u32_e64 s[2:3], 64, v0
	s_and_saveexec_b64 s[0:1], s[2:3]
	s_cbranch_execz .LBB3_2
; %bb.1:
	ds_write_b16 v10, v3 offset:1040
.LBB3_2:
	s_or_b64 exec, exec, s[0:1]
	v_cmp_gt_u32_e64 s[0:1], 32, v0
	s_and_saveexec_b64 s[4:5], s[0:1]
	s_cbranch_execz .LBB3_4
; %bb.3:
	v_mov_b32_e32 v1, 0
	ds_write_b16 v10, v1 offset:1104
.LBB3_4:
	s_or_b64 exec, exec, s[4:5]
	v_mbcnt_lo_u32_b32 v1, -1, 0
	v_mbcnt_hi_u32_b32 v1, -1, v1
	v_and_b32_e32 v2, 15, v1
	v_cmp_eq_u32_e64 s[6:7], 0, v2
	v_cmp_lt_u32_e64 s[8:9], 1, v2
	v_cmp_lt_u32_e64 s[10:11], 3, v2
	;; [unrolled: 1-line block ×3, first 2 shown]
	v_and_b32_e32 v2, 16, v1
	v_cmp_eq_u32_e64 s[14:15], 0, v2
	v_add_u32_e32 v2, -1, v1
	v_and_b32_e32 v3, 0x60, v1
	v_cmp_lt_i32_e32 vcc, v2, v3
	s_movk_i32 s4, 0x100
	v_cndmask_b32_e32 v2, v2, v1, vcc
	v_cmp_gt_u32_e64 s[4:5], s4, v0
	v_lshlrev_b32_e32 v12, 5, v0
	s_mov_b32 s31, 0
	v_cmp_eq_u32_e64 s[16:17], 31, v0
	v_lshlrev_b32_e32 v14, 2, v2
	v_cmp_eq_u32_e64 s[18:19], 0, v1
	v_lshlrev_b32_e32 v13, 1, v10
	v_or_b32_e32 v1, 32, v0
	v_mov_b32_e32 v15, 0
	s_movk_i32 s33, 0xe0
	s_waitcnt lgkmcnt(0)
	; wave barrier
	s_waitcnt lgkmcnt(0)
	s_branch .LBB3_6
.LBB3_5:                                ;   in Loop: Header=BB3_6 Depth=1
	v_lshlrev_b32_e32 v5, 1, v3
	s_waitcnt lgkmcnt(0)
	; wave barrier
	ds_write_b16 v5, v11
	v_lshlrev_b32_e32 v5, 1, v4
	ds_write_b16 v5, v16
	s_waitcnt lgkmcnt(0)
	; wave barrier
	s_waitcnt lgkmcnt(0)
	ds_read_b32 v11, v13
	s_add_i32 s31, s31, 4
	s_waitcnt lgkmcnt(0)
	; wave barrier
	s_waitcnt lgkmcnt(0)
	s_cbranch_execz .LBB3_17
.LBB3_6:                                ; =>This Loop Header: Depth=1
                                        ;     Child Loop BB3_9 Depth 2
	s_and_saveexec_b64 s[20:21], s[4:5]
	s_cbranch_execz .LBB3_13
; %bb.7:                                ;   in Loop: Header=BB3_6 Depth=1
	s_mov_b32 s34, 0
	s_mov_b64 s[24:25], 0
	v_pk_mov_b32 v[2:3], v[0:1], v[0:1] op_sel:[0,1]
	s_branch .LBB3_9
.LBB3_8:                                ;   in Loop: Header=BB3_9 Depth=2
	s_or_b64 exec, exec, s[28:29]
	s_add_i32 s34, s34, 2
	v_cmp_eq_u32_e64 s[26:27], 8, s34
	v_add_u32_e32 v3, 64, v3
	s_or_b64 s[24:25], s[26:27], s[24:25]
	v_add_u32_e32 v2, 64, v2
	s_andn2_b64 exec, exec, s[24:25]
	s_cbranch_execz .LBB3_13
.LBB3_9:                                ;   Parent Loop BB3_6 Depth=1
                                        ; =>  This Inner Loop Header: Depth=2
	s_or_b32 s26, s34, 1
	v_cmp_le_u32_e64 s[26:27], s26, 7
	v_cmp_le_u32_e64 s[36:37], s34, 7
	s_and_saveexec_b64 s[28:29], s[36:37]
	s_cbranch_execz .LBB3_11
; %bb.10:                               ;   in Loop: Header=BB3_9 Depth=2
	v_lshlrev_b32_e32 v4, 2, v2
	ds_write_b32 v4, v15
.LBB3_11:                               ;   in Loop: Header=BB3_9 Depth=2
	s_or_b64 exec, exec, s[28:29]
	s_and_saveexec_b64 s[28:29], s[26:27]
	s_cbranch_execz .LBB3_8
; %bb.12:                               ;   in Loop: Header=BB3_9 Depth=2
	v_lshlrev_b32_e32 v4, 2, v3
	ds_write_b32 v4, v15
	s_branch .LBB3_8
.LBB3_13:                               ;   in Loop: Header=BB3_6 Depth=1
	s_or_b64 exec, exec, s[20:21]
	s_waitcnt vmcnt(0)
	v_lshrrev_b32_sdwa v2, s31, v11 dst_sel:DWORD dst_unused:UNUSED_PAD src0_sel:DWORD src1_sel:WORD_0
	v_lshlrev_b32_e32 v3, 5, v2
	v_lshrrev_b32_e32 v2, 2, v2
	v_and_or_b32 v3, v3, s33, v0
	v_and_b32_e32 v2, 2, v2
	v_lshl_or_b32 v18, v3, 2, v2
	ds_read_u16 v17, v18
	v_lshrrev_b32_e32 v16, 16, v11
	v_lshrrev_b32_e32 v2, s31, v16
	s_waitcnt lgkmcnt(0)
	v_add_u16_e32 v3, 1, v17
	ds_write_b16 v18, v3
	v_lshlrev_b32_e32 v3, 5, v2
	v_lshrrev_b32_e32 v2, 2, v2
	v_and_or_b32 v3, v3, s33, v0
	v_and_b32_e32 v2, 2, v2
	v_lshl_or_b32 v20, v3, 2, v2
	ds_read_u16 v19, v20
	s_waitcnt lgkmcnt(0)
	v_add_u16_e32 v2, 1, v19
	ds_write_b16 v20, v2
	s_waitcnt lgkmcnt(0)
	; wave barrier
	s_waitcnt lgkmcnt(0)
	ds_read2_b32 v[8:9], v12 offset1:1
	ds_read2_b32 v[6:7], v12 offset0:2 offset1:3
	ds_read2_b32 v[2:3], v12 offset0:4 offset1:5
	;; [unrolled: 1-line block ×3, first 2 shown]
	s_waitcnt lgkmcnt(3)
	v_add_u32_e32 v21, v9, v8
	s_waitcnt lgkmcnt(2)
	v_add3_u32 v21, v21, v6, v7
	s_waitcnt lgkmcnt(1)
	v_add3_u32 v21, v21, v2, v3
	;; [unrolled: 2-line block ×3, first 2 shown]
	s_nop 1
	v_mov_b32_dpp v21, v5 row_shr:1 row_mask:0xf bank_mask:0xf
	v_cndmask_b32_e64 v21, v21, 0, s[6:7]
	v_add_u32_e32 v5, v21, v5
	s_nop 1
	v_mov_b32_dpp v21, v5 row_shr:2 row_mask:0xf bank_mask:0xf
	v_cndmask_b32_e64 v21, 0, v21, s[8:9]
	v_add_u32_e32 v5, v5, v21
	;; [unrolled: 4-line block ×4, first 2 shown]
	s_nop 1
	v_mov_b32_dpp v21, v5 row_bcast:15 row_mask:0xf bank_mask:0xf
	v_cndmask_b32_e64 v21, v21, 0, s[14:15]
	v_add_u32_e32 v5, v5, v21
	s_and_saveexec_b64 s[20:21], s[16:17]
	s_cbranch_execz .LBB3_15
; %bb.14:                               ;   in Loop: Header=BB3_6 Depth=1
	ds_write_b32 v15, v5 offset:1024
.LBB3_15:                               ;   in Loop: Header=BB3_6 Depth=1
	s_or_b64 exec, exec, s[20:21]
	ds_bpermute_b32 v5, v14, v5
	s_waitcnt lgkmcnt(0)
	; wave barrier
	s_waitcnt lgkmcnt(0)
	ds_read_b32 v21, v15 offset:1024
	s_cmp_gt_u32 s31, 11
	v_cndmask_b32_e64 v5, v5, 0, s[18:19]
	s_waitcnt lgkmcnt(0)
	v_lshl_add_u32 v5, v21, 16, v5
	v_add_u32_e32 v8, v5, v8
	v_add_u32_e32 v9, v8, v9
	ds_write2_b32 v12, v5, v8 offset1:1
	v_add_u32_e32 v5, v9, v6
	v_add_u32_e32 v6, v5, v7
	;; [unrolled: 1-line block ×5, first 2 shown]
	ds_write2_b32 v12, v9, v5 offset0:2 offset1:3
	ds_write2_b32 v12, v6, v2 offset0:4 offset1:5
	;; [unrolled: 1-line block ×3, first 2 shown]
	s_waitcnt lgkmcnt(0)
	; wave barrier
	s_waitcnt lgkmcnt(0)
	ds_read_u16 v3, v18
	ds_read_u16 v4, v20
	v_mov_b32_e32 v2, v11
	s_waitcnt lgkmcnt(1)
	v_add_u32_sdwa v3, v3, v17 dst_sel:DWORD dst_unused:UNUSED_PAD src0_sel:DWORD src1_sel:WORD_0
	s_waitcnt lgkmcnt(0)
	v_add_u32_sdwa v4, v4, v19 dst_sel:DWORD dst_unused:UNUSED_PAD src0_sel:DWORD src1_sel:WORD_0
	s_cbranch_scc0 .LBB3_5
; %bb.16:
                                        ; implicit-def: $sgpr31
                                        ; implicit-def: $vgpr11
.LBB3_17:
	v_lshlrev_b32_e32 v1, 1, v3
	s_waitcnt lgkmcnt(0)
	; wave barrier
	ds_write_b16 v1, v2
	v_lshlrev_b32_e32 v1, 1, v4
	ds_write_b16 v1, v16
	s_waitcnt lgkmcnt(0)
	; wave barrier
	s_waitcnt lgkmcnt(0)
	ds_read_u16 v1, v13
	ds_read_u16 v2, v13 offset:2
	s_waitcnt lgkmcnt(0)
	; wave barrier
	s_waitcnt lgkmcnt(0)
	s_and_saveexec_b64 s[4:5], s[2:3]
	s_cbranch_execz .LBB3_20
; %bb.18:
	v_mov_b32_e32 v3, 0x80
	v_lshl_or_b32 v3, v0, 2, v3
	s_mov_b64 s[6:7], 0
	v_mov_b32_e32 v4, 64
	v_mov_b32_e32 v5, v0
.LBB3_19:                               ; =>This Inner Loop Header: Depth=1
	v_add_u32_e32 v5, 32, v5
	v_cmp_lt_u32_e32 vcc, 63, v5
	ds_write2st64_b32 v3, v4, v4 offset1:1
	s_or_b64 s[6:7], vcc, s[6:7]
	v_add_u32_e32 v3, 0x80, v3
	s_andn2_b64 exec, exec, s[6:7]
	s_cbranch_execnz .LBB3_19
.LBB3_20:
	s_or_b64 exec, exec, s[4:5]
	v_cmp_ne_u16_e32 vcc, v1, v2
	s_waitcnt lgkmcnt(0)
	; wave barrier
	s_waitcnt lgkmcnt(0)
	ds_write_b16 v10, v2
	s_and_saveexec_b64 s[4:5], vcc
	s_cbranch_execz .LBB3_22
; %bb.21:
	v_mov_b32_e32 v4, 2
	v_or_b32_e32 v3, 1, v10
	v_lshlrev_b32_sdwa v2, v4, v2 dst_sel:DWORD dst_unused:UNUSED_PAD src0_sel:DWORD src1_sel:WORD_0
	v_lshlrev_b32_sdwa v5, v4, v1 dst_sel:DWORD dst_unused:UNUSED_PAD src0_sel:DWORD src1_sel:WORD_0
	ds_write_b32 v2, v3 offset:128
	ds_write_b32 v5, v3 offset:384
.LBB3_22:
	s_or_b64 exec, exec, s[4:5]
	v_cmp_eq_u32_e32 vcc, 0, v0
	v_cmp_ne_u32_e64 s[4:5], 0, v0
	s_waitcnt lgkmcnt(0)
	; wave barrier
	s_waitcnt lgkmcnt(0)
	s_and_saveexec_b64 s[6:7], s[4:5]
	s_cbranch_execz .LBB3_25
; %bb.23:
	v_add_u32_e32 v2, -2, v10
	ds_read_u16 v3, v2
	s_waitcnt lgkmcnt(0)
	v_cmp_ne_u16_e64 s[4:5], v3, v1
	s_and_b64 exec, exec, s[4:5]
	s_cbranch_execz .LBB3_25
; %bb.24:
	v_mov_b32_e32 v3, 2
	v_lshlrev_b32_sdwa v3, v3, v1 dst_sel:DWORD dst_unused:UNUSED_PAD src0_sel:DWORD src1_sel:WORD_0
	ds_write_b32 v3, v10 offset:128
	ds_read_u16 v2, v2
	s_waitcnt lgkmcnt(0)
	v_lshlrev_b32_e32 v2, 2, v2
	ds_write_b32 v2, v10 offset:384
.LBB3_25:
	s_or_b64 exec, exec, s[6:7]
	s_waitcnt lgkmcnt(0)
	; wave barrier
	s_waitcnt lgkmcnt(0)
	s_and_saveexec_b64 s[4:5], vcc
	s_cbranch_execz .LBB3_27
; %bb.26:
	v_mov_b32_e32 v2, 2
	v_lshlrev_b32_sdwa v1, v2, v1 dst_sel:DWORD dst_unused:UNUSED_PAD src0_sel:DWORD src1_sel:WORD_0
	v_mov_b32_e32 v2, 0
	ds_write_b32 v1, v2 offset:128
.LBB3_27:
	s_or_b64 exec, exec, s[4:5]
	v_lshlrev_b32_e32 v1, 2, v0
	s_waitcnt lgkmcnt(0)
	; wave barrier
	s_waitcnt lgkmcnt(0)
	s_and_saveexec_b64 s[4:5], s[2:3]
	s_cbranch_execz .LBB3_29
; %bb.28:
	ds_read2_b32 v[2:3], v1 offset0:32 offset1:96
	ds_read_u16 v4, v10 offset:1040
	s_waitcnt lgkmcnt(1)
	v_sub_u32_e32 v2, v3, v2
	s_waitcnt lgkmcnt(0)
	v_add_u16_e32 v2, v4, v2
	ds_write_b16 v10, v2 offset:1040
.LBB3_29:
	s_or_b64 exec, exec, s[4:5]
	s_and_saveexec_b64 s[4:5], s[0:1]
	s_cbranch_execz .LBB3_31
; %bb.30:
	ds_read2st64_b32 v[2:3], v1 offset0:1 offset1:2
	ds_read_u16 v1, v10 offset:1104
	s_waitcnt lgkmcnt(1)
	v_sub_u32_e32 v2, v3, v2
	s_waitcnt lgkmcnt(0)
	v_add_u16_e32 v1, v1, v2
	ds_write_b16 v10, v1 offset:1104
.LBB3_31:
	s_or_b64 exec, exec, s[4:5]
	v_mov_b32_e32 v1, s30
	s_waitcnt lgkmcnt(0)
	; wave barrier
	s_waitcnt lgkmcnt(0)
	s_and_saveexec_b64 s[4:5], s[2:3]
	s_cbranch_execnz .LBB3_34
; %bb.32:
	s_or_b64 exec, exec, s[4:5]
	s_and_saveexec_b64 s[2:3], s[0:1]
	s_cbranch_execnz .LBB3_35
.LBB3_33:
	s_endpgm
.LBB3_34:
	ds_read_u16 v4, v10 offset:1040
	v_or_b32_e32 v2, s30, v0
	v_mov_b32_e32 v3, 0
	v_lshlrev_b64 v[2:3], 1, v[2:3]
	s_or_b32 s2, s30, 32
	v_mov_b32_e32 v1, s23
	v_add_co_u32_e32 v2, vcc, s22, v2
	v_addc_co_u32_e32 v3, vcc, v1, v3, vcc
	v_mov_b32_e32 v1, s2
	s_waitcnt lgkmcnt(0)
	global_store_short v[2:3], v4, off
	s_or_b64 exec, exec, s[4:5]
	s_and_saveexec_b64 s[2:3], s[0:1]
	s_cbranch_execz .LBB3_33
.LBB3_35:
	ds_read_u16 v3, v10 offset:1104
	v_add_u32_e32 v0, v1, v0
	v_mov_b32_e32 v1, 0
	v_lshlrev_b64 v[0:1], 1, v[0:1]
	v_mov_b32_e32 v2, s23
	v_add_co_u32_e32 v0, vcc, s22, v0
	v_addc_co_u32_e32 v1, vcc, v2, v1, vcc
	s_waitcnt lgkmcnt(0)
	global_store_short v[0:1], v3, off
	s_endpgm
	.section	.rodata,"a",@progbits
	.p2align	6, 0x0
	.amdhsa_kernel _Z16histogram_kernelILj32ELj2ELj64ELN6hipcub23BlockHistogramAlgorithmE1EtEvPT3_S3_
		.amdhsa_group_segment_fixed_size 1168
		.amdhsa_private_segment_fixed_size 0
		.amdhsa_kernarg_size 16
		.amdhsa_user_sgpr_count 6
		.amdhsa_user_sgpr_private_segment_buffer 1
		.amdhsa_user_sgpr_dispatch_ptr 0
		.amdhsa_user_sgpr_queue_ptr 0
		.amdhsa_user_sgpr_kernarg_segment_ptr 1
		.amdhsa_user_sgpr_dispatch_id 0
		.amdhsa_user_sgpr_flat_scratch_init 0
		.amdhsa_user_sgpr_kernarg_preload_length 0
		.amdhsa_user_sgpr_kernarg_preload_offset 0
		.amdhsa_user_sgpr_private_segment_size 0
		.amdhsa_uses_dynamic_stack 0
		.amdhsa_system_sgpr_private_segment_wavefront_offset 0
		.amdhsa_system_sgpr_workgroup_id_x 1
		.amdhsa_system_sgpr_workgroup_id_y 0
		.amdhsa_system_sgpr_workgroup_id_z 0
		.amdhsa_system_sgpr_workgroup_info 0
		.amdhsa_system_vgpr_workitem_id 0
		.amdhsa_next_free_vgpr 22
		.amdhsa_next_free_sgpr 38
		.amdhsa_accum_offset 24
		.amdhsa_reserve_vcc 1
		.amdhsa_reserve_flat_scratch 0
		.amdhsa_float_round_mode_32 0
		.amdhsa_float_round_mode_16_64 0
		.amdhsa_float_denorm_mode_32 3
		.amdhsa_float_denorm_mode_16_64 3
		.amdhsa_dx10_clamp 1
		.amdhsa_ieee_mode 1
		.amdhsa_fp16_overflow 0
		.amdhsa_tg_split 0
		.amdhsa_exception_fp_ieee_invalid_op 0
		.amdhsa_exception_fp_denorm_src 0
		.amdhsa_exception_fp_ieee_div_zero 0
		.amdhsa_exception_fp_ieee_overflow 0
		.amdhsa_exception_fp_ieee_underflow 0
		.amdhsa_exception_fp_ieee_inexact 0
		.amdhsa_exception_int_div_zero 0
	.end_amdhsa_kernel
	.section	.text._Z16histogram_kernelILj32ELj2ELj64ELN6hipcub23BlockHistogramAlgorithmE1EtEvPT3_S3_,"axG",@progbits,_Z16histogram_kernelILj32ELj2ELj64ELN6hipcub23BlockHistogramAlgorithmE1EtEvPT3_S3_,comdat
.Lfunc_end3:
	.size	_Z16histogram_kernelILj32ELj2ELj64ELN6hipcub23BlockHistogramAlgorithmE1EtEvPT3_S3_, .Lfunc_end3-_Z16histogram_kernelILj32ELj2ELj64ELN6hipcub23BlockHistogramAlgorithmE1EtEvPT3_S3_
                                        ; -- End function
	.section	.AMDGPU.csdata,"",@progbits
; Kernel info:
; codeLenInByte = 1608
; NumSgprs: 42
; NumVgprs: 22
; NumAgprs: 0
; TotalNumVgprs: 22
; ScratchSize: 0
; MemoryBound: 0
; FloatMode: 240
; IeeeMode: 1
; LDSByteSize: 1168 bytes/workgroup (compile time only)
; SGPRBlocks: 5
; VGPRBlocks: 2
; NumSGPRsForWavesPerEU: 42
; NumVGPRsForWavesPerEU: 22
; AccumOffset: 24
; Occupancy: 8
; WaveLimiterHint : 0
; COMPUTE_PGM_RSRC2:SCRATCH_EN: 0
; COMPUTE_PGM_RSRC2:USER_SGPR: 6
; COMPUTE_PGM_RSRC2:TRAP_HANDLER: 0
; COMPUTE_PGM_RSRC2:TGID_X_EN: 1
; COMPUTE_PGM_RSRC2:TGID_Y_EN: 0
; COMPUTE_PGM_RSRC2:TGID_Z_EN: 0
; COMPUTE_PGM_RSRC2:TIDIG_COMP_CNT: 0
; COMPUTE_PGM_RSRC3_GFX90A:ACCUM_OFFSET: 5
; COMPUTE_PGM_RSRC3_GFX90A:TG_SPLIT: 0
	.section	.text._Z16histogram_kernelILj6ELj32ELj18ELN6hipcub23BlockHistogramAlgorithmE1EtEvPT3_S3_,"axG",@progbits,_Z16histogram_kernelILj6ELj32ELj18ELN6hipcub23BlockHistogramAlgorithmE1EtEvPT3_S3_,comdat
	.protected	_Z16histogram_kernelILj6ELj32ELj18ELN6hipcub23BlockHistogramAlgorithmE1EtEvPT3_S3_ ; -- Begin function _Z16histogram_kernelILj6ELj32ELj18ELN6hipcub23BlockHistogramAlgorithmE1EtEvPT3_S3_
	.globl	_Z16histogram_kernelILj6ELj32ELj18ELN6hipcub23BlockHistogramAlgorithmE1EtEvPT3_S3_
	.p2align	8
	.type	_Z16histogram_kernelILj6ELj32ELj18ELN6hipcub23BlockHistogramAlgorithmE1EtEvPT3_S3_,@function
_Z16histogram_kernelILj6ELj32ELj18ELN6hipcub23BlockHistogramAlgorithmE1EtEvPT3_S3_: ; @_Z16histogram_kernelILj6ELj32ELj18ELN6hipcub23BlockHistogramAlgorithmE1EtEvPT3_S3_
; %bb.0:
	s_load_dwordx4 s[20:23], s[4:5], 0x0
	s_mul_i32 s0, s6, 6
	v_add_lshl_u32 v18, s0, v0, 5
	v_mov_b32_e32 v19, 0
	v_lshlrev_b64 v[2:3], 1, v[18:19]
	s_waitcnt lgkmcnt(0)
	v_mov_b32_e32 v1, s21
	v_add_co_u32_e32 v20, vcc, s20, v2
	v_addc_co_u32_e32 v21, vcc, v1, v3, vcc
	global_load_dwordx4 v[14:17], v[20:21], off
	global_load_dwordx4 v[10:13], v[20:21], off offset:16
	global_load_dwordx4 v[6:9], v[20:21], off offset:32
	;; [unrolled: 1-line block ×3, first 2 shown]
	v_cmp_gt_u32_e64 s[4:5], 18, v0
	v_lshlrev_b32_e32 v28, 1, v0
	s_and_saveexec_b64 s[0:1], s[4:5]
	s_cbranch_execnz .LBB4_65
; %bb.1:
	s_or_b64 exec, exec, s[0:1]
	v_cmp_gt_u32_e64 s[2:3], 12, v0
	s_and_saveexec_b64 s[0:1], s[2:3]
	s_cbranch_execnz .LBB4_66
.LBB4_2:
	s_or_b64 exec, exec, s[0:1]
	v_cmp_gt_u32_e64 s[0:1], 6, v0
	s_and_saveexec_b64 s[8:9], s[0:1]
	s_cbranch_execz .LBB4_4
.LBB4_3:
	v_mov_b32_e32 v1, 0
	ds_write_b16 v28, v1 offset:408
.LBB4_4:
	s_or_b64 exec, exec, s[8:9]
	v_mbcnt_lo_u32_b32 v1, -1, 0
	v_mbcnt_hi_u32_b32 v1, -1, v1
	v_and_b32_e32 v18, 7, v1
	v_cmp_eq_u32_e64 s[8:9], 0, v18
	v_cmp_lt_u32_e64 s[10:11], 1, v18
	v_cmp_lt_u32_e64 s[12:13], 3, v18
	v_add_u32_e32 v18, -1, v1
	v_and_b32_e32 v19, 0x78, v1
	v_cmp_lt_i32_e32 vcc, v18, v19
	v_cndmask_b32_e32 v18, v18, v1, vcc
	v_cmp_gt_u32_e32 vcc, 42, v0
	v_cmp_eq_u32_e64 s[16:17], 0, v1
	v_subb_co_u32_e64 v1, s[20:21], 42, v0, vcc
	s_mov_b32 s20, 0x2aaaaaab
	v_mul_hi_u32 v1, v1, s20
	v_lshlrev_b32_e32 v31, 2, v18
	v_addc_co_u32_e32 v18, vcc, 0, v1, vcc
	v_and_b32_e32 v20, 14, v18
	v_cmp_gt_u32_e64 s[18:19], 48, v0
	v_lshlrev_b32_e32 v29, 5, v0
	s_mov_b32 s7, 0
	v_cmp_eq_u32_e64 s[14:15], 5, v0
	v_lshlrev_b32_e32 v30, 6, v0
	v_add_u32_e32 v1, 6, v0
	v_mov_b32_e32 v19, v18
	v_add_u32_e32 v32, 2, v20
	v_mov_b32_e32 v33, 0
	s_waitcnt lgkmcnt(0)
	; wave barrier
	s_waitcnt lgkmcnt(0)
	s_branch .LBB4_6
.LBB4_5:                                ;   in Loop: Header=BB4_6 Depth=1
	v_lshlrev_b32_e32 v90, 1, v50
	s_waitcnt lgkmcnt(0)
	; wave barrier
	ds_write_b16 v90, v14
	v_lshlrev_b32_e32 v14, 1, v27
	ds_write_b16 v14, v34
	v_lshlrev_b32_e32 v14, 1, v26
	;; [unrolled: 2-line block ×31, first 2 shown]
	ds_write_b16 v2, v49
	s_waitcnt lgkmcnt(0)
	; wave barrier
	s_waitcnt lgkmcnt(0)
	ds_read_b128 v[14:17], v30
	ds_read_b128 v[10:13], v30 offset:16
	ds_read_b128 v[6:9], v30 offset:32
	;; [unrolled: 1-line block ×3, first 2 shown]
	s_add_i32 s7, s7, 4
	s_waitcnt lgkmcnt(0)
	; wave barrier
	s_waitcnt lgkmcnt(0)
	s_cbranch_execz .LBB4_17
.LBB4_6:                                ; =>This Loop Header: Depth=1
                                        ;     Child Loop BB4_9 Depth 2
	s_and_saveexec_b64 s[24:25], s[18:19]
	s_cbranch_execz .LBB4_13
; %bb.7:                                ;   in Loop: Header=BB4_6 Depth=1
	s_mov_b32 s30, 0
	s_mov_b64 s[26:27], 0
	v_pk_mov_b32 v[20:21], v[0:1], v[0:1] op_sel:[0,1]
	s_branch .LBB4_9
.LBB4_8:                                ;   in Loop: Header=BB4_9 Depth=2
	s_or_b64 exec, exec, s[20:21]
	s_add_i32 s30, s30, 2
	v_cmp_eq_u32_e32 vcc, s30, v32
	v_add_u32_e32 v21, 12, v21
	s_or_b64 s[26:27], vcc, s[26:27]
	v_add_u32_e32 v20, 12, v20
	s_andn2_b64 exec, exec, s[26:27]
	s_cbranch_execz .LBB4_13
.LBB4_9:                                ;   Parent Loop BB4_6 Depth=1
                                        ; =>  This Inner Loop Header: Depth=2
	s_or_b32 s20, s30, 1
	v_cmp_le_u32_e32 vcc, s20, v19
	v_cmp_le_u32_e64 s[20:21], s30, v18
	s_and_saveexec_b64 s[28:29], s[20:21]
	s_cbranch_execz .LBB4_11
; %bb.10:                               ;   in Loop: Header=BB4_9 Depth=2
	v_lshlrev_b32_e32 v22, 2, v20
	ds_write_b32 v22, v33
.LBB4_11:                               ;   in Loop: Header=BB4_9 Depth=2
	s_or_b64 exec, exec, s[28:29]
	s_and_saveexec_b64 s[20:21], vcc
	s_cbranch_execz .LBB4_8
; %bb.12:                               ;   in Loop: Header=BB4_9 Depth=2
	v_lshlrev_b32_e32 v22, 2, v21
	ds_write_b32 v22, v33
	s_branch .LBB4_8
.LBB4_13:                               ;   in Loop: Header=BB4_6 Depth=1
	s_or_b64 exec, exec, s[24:25]
	s_waitcnt vmcnt(3)
	v_and_b32_e32 v20, 0xffff, v14
	v_lshrrev_b32_e32 v21, s7, v20
	v_bfe_u32 v20, v20, s7, 3
	v_lshrrev_b32_e32 v21, 2, v21
	v_mad_u32_u24 v20, v20, 6, v0
	v_and_b32_e32 v21, 2, v21
	v_lshl_or_b32 v52, v20, 2, v21
	ds_read_u16 v50, v52
	v_lshrrev_b32_e32 v34, 16, v14
	v_lshrrev_b32_e32 v20, s7, v34
	;; [unrolled: 1-line block ×3, first 2 shown]
	v_and_b32_e32 v20, 2, v20
	s_waitcnt lgkmcnt(0)
	v_add_u16_e32 v21, 1, v50
	ds_write_b16 v52, v21
	v_bfe_u32 v21, v34, s7, 3
	v_mad_u32_u24 v21, v21, 6, v0
	v_lshl_or_b32 v54, v21, 2, v20
	ds_read_u16 v51, v54
	v_lshrrev_b32_e32 v35, 16, v15
	v_lshrrev_b32_e32 v36, 16, v16
	;; [unrolled: 1-line block ×3, first 2 shown]
	s_waitcnt vmcnt(2)
	v_lshrrev_b32_e32 v38, 16, v10
	s_waitcnt lgkmcnt(0)
	v_add_u16_e32 v20, 1, v51
	ds_write_b16 v54, v20
	v_and_b32_e32 v20, 0xffff, v15
	v_lshrrev_b32_e32 v21, s7, v20
	v_bfe_u32 v20, v20, s7, 3
	v_lshrrev_b32_e32 v21, 2, v21
	v_mad_u32_u24 v20, v20, 6, v0
	v_and_b32_e32 v21, 2, v21
	v_lshl_or_b32 v56, v20, 2, v21
	ds_read_u16 v53, v56
	v_bfe_u32 v21, v35, s7, 3
	v_mad_u32_u24 v21, v21, 6, v0
	v_lshrrev_b32_e32 v39, 16, v11
	v_lshrrev_b32_e32 v40, 16, v12
	s_waitcnt lgkmcnt(0)
	v_add_u16_e32 v20, 1, v53
	ds_write_b16 v56, v20
	v_lshrrev_b32_e32 v20, s7, v35
	v_lshrrev_b32_e32 v20, 2, v20
	v_and_b32_e32 v20, 2, v20
	v_lshl_or_b32 v58, v21, 2, v20
	ds_read_u16 v55, v58
	v_lshrrev_b32_e32 v41, 16, v13
	s_waitcnt vmcnt(1)
	v_lshrrev_b32_e32 v42, 16, v6
	v_lshrrev_b32_e32 v43, 16, v7
	;; [unrolled: 1-line block ×3, first 2 shown]
	s_waitcnt lgkmcnt(0)
	v_add_u16_e32 v20, 1, v55
	ds_write_b16 v58, v20
	v_and_b32_e32 v20, 0xffff, v16
	v_lshrrev_b32_e32 v21, s7, v20
	v_bfe_u32 v20, v20, s7, 3
	v_lshrrev_b32_e32 v21, 2, v21
	v_mad_u32_u24 v20, v20, 6, v0
	v_and_b32_e32 v21, 2, v21
	v_lshl_or_b32 v60, v20, 2, v21
	ds_read_u16 v57, v60
	v_bfe_u32 v21, v36, s7, 3
	v_mad_u32_u24 v21, v21, 6, v0
	v_lshrrev_b32_e32 v45, 16, v9
	s_waitcnt vmcnt(0)
	v_lshrrev_b32_e32 v46, 16, v2
	s_waitcnt lgkmcnt(0)
	v_add_u16_e32 v20, 1, v57
	ds_write_b16 v60, v20
	v_lshrrev_b32_e32 v20, s7, v36
	v_lshrrev_b32_e32 v20, 2, v20
	v_and_b32_e32 v20, 2, v20
	v_lshl_or_b32 v62, v21, 2, v20
	ds_read_u16 v59, v62
	v_lshrrev_b32_e32 v47, 16, v3
	v_lshrrev_b32_e32 v48, 16, v4
	;; [unrolled: 1-line block ×3, first 2 shown]
	s_waitcnt lgkmcnt(0)
	v_add_u16_e32 v20, 1, v59
	ds_write_b16 v62, v20
	v_and_b32_e32 v20, 0xffff, v17
	v_lshrrev_b32_e32 v21, s7, v20
	v_bfe_u32 v20, v20, s7, 3
	v_lshrrev_b32_e32 v21, 2, v21
	v_mad_u32_u24 v20, v20, 6, v0
	v_and_b32_e32 v21, 2, v21
	v_lshl_or_b32 v70, v20, 2, v21
	ds_read_u16 v63, v70
	v_bfe_u32 v21, v37, s7, 3
	v_mad_u32_u24 v21, v21, 6, v0
	s_waitcnt lgkmcnt(0)
	v_add_u16_e32 v20, 1, v63
	ds_write_b16 v70, v20
	v_lshrrev_b32_e32 v20, s7, v37
	v_lshrrev_b32_e32 v20, 2, v20
	v_and_b32_e32 v20, 2, v20
	v_lshl_or_b32 v75, v21, 2, v20
	ds_read_u16 v71, v75
	s_waitcnt lgkmcnt(0)
	v_add_u16_e32 v20, 1, v71
	ds_write_b16 v75, v20
	v_and_b32_e32 v20, 0xffff, v10
	v_lshrrev_b32_e32 v21, s7, v20
	v_bfe_u32 v20, v20, s7, 3
	v_lshrrev_b32_e32 v21, 2, v21
	v_mad_u32_u24 v20, v20, 6, v0
	v_and_b32_e32 v21, 2, v21
	v_lshl_or_b32 v77, v20, 2, v21
	ds_read_u16 v66, v77
	v_bfe_u32 v21, v38, s7, 3
	v_mad_u32_u24 v21, v21, 6, v0
	s_waitcnt lgkmcnt(0)
	v_add_u16_e32 v20, 1, v66
	ds_write_b16 v77, v20
	v_lshrrev_b32_e32 v20, s7, v38
	v_lshrrev_b32_e32 v20, 2, v20
	v_and_b32_e32 v20, 2, v20
	v_lshl_or_b32 v82, v21, 2, v20
	ds_read_u16 v73, v82
	;; [unrolled: 21-line block ×5, first 2 shown]
	s_waitcnt lgkmcnt(0)
	v_add_u16_e32 v20, 1, v96
	ds_write_b16 v98, v20
	v_and_b32_e32 v20, 0xffff, v6
	v_lshrrev_b32_e32 v21, s7, v20
	v_bfe_u32 v20, v20, s7, 3
	v_lshrrev_b32_e32 v21, 2, v21
	v_mad_u32_u24 v20, v20, 6, v0
	v_and_b32_e32 v21, 2, v21
	v_lshl_or_b32 v99, v20, 2, v21
	ds_read_u16 v94, v99
	v_lshrrev_b32_e32 v21, s7, v42
	v_lshrrev_b32_e32 v21, 2, v21
	v_and_b32_e32 v21, 2, v21
	s_waitcnt lgkmcnt(0)
	v_add_u16_e32 v20, 1, v94
	ds_write_b16 v99, v20
	v_bfe_u32 v20, v42, s7, 3
	v_mad_u32_u24 v20, v20, 6, v0
	v_lshl_or_b32 v101, v20, 2, v21
	ds_read_u16 v97, v101
	s_waitcnt lgkmcnt(0)
	v_add_u16_e32 v20, 1, v97
	ds_write_b16 v101, v20
	v_and_b32_e32 v20, 0xffff, v7
	v_lshrrev_b32_e32 v21, s7, v20
	v_bfe_u32 v20, v20, s7, 3
	v_lshrrev_b32_e32 v21, 2, v21
	v_mad_u32_u24 v20, v20, 6, v0
	v_and_b32_e32 v21, 2, v21
	v_lshl_or_b32 v103, v20, 2, v21
	ds_read_u16 v100, v103
	v_lshrrev_b32_e32 v21, s7, v43
	v_lshrrev_b32_e32 v21, 2, v21
	v_and_b32_e32 v21, 2, v21
	s_waitcnt lgkmcnt(0)
	v_add_u16_e32 v20, 1, v100
	ds_write_b16 v103, v20
	v_bfe_u32 v20, v43, s7, 3
	v_mad_u32_u24 v20, v20, 6, v0
	v_lshl_or_b32 v105, v20, 2, v21
	ds_read_u16 v102, v105
	s_waitcnt lgkmcnt(0)
	v_add_u16_e32 v20, 1, v102
	ds_write_b16 v105, v20
	v_and_b32_e32 v20, 0xffff, v8
	v_lshrrev_b32_e32 v21, s7, v20
	v_bfe_u32 v20, v20, s7, 3
	v_lshrrev_b32_e32 v21, 2, v21
	v_mad_u32_u24 v20, v20, 6, v0
	v_and_b32_e32 v21, 2, v21
	v_lshl_or_b32 v106, v20, 2, v21
	ds_read_u16 v104, v106
	v_lshrrev_b32_e32 v21, s7, v44
	v_lshrrev_b32_e32 v21, 2, v21
	v_and_b32_e32 v21, 2, v21
	s_waitcnt lgkmcnt(0)
	v_add_u16_e32 v20, 1, v104
	ds_write_b16 v106, v20
	v_bfe_u32 v20, v44, s7, 3
	v_mad_u32_u24 v20, v20, 6, v0
	v_lshl_or_b32 v108, v20, 2, v21
	ds_read_u16 v107, v108
	s_waitcnt lgkmcnt(0)
	v_add_u16_e32 v20, 1, v107
	ds_write_b16 v108, v20
	v_and_b32_e32 v20, 0xffff, v9
	v_lshrrev_b32_e32 v21, s7, v20
	v_bfe_u32 v20, v20, s7, 3
	v_lshrrev_b32_e32 v21, 2, v21
	v_mad_u32_u24 v20, v20, 6, v0
	v_and_b32_e32 v21, 2, v21
	v_lshl_or_b32 v111, v20, 2, v21
	ds_read_u16 v109, v111
	v_lshrrev_b32_e32 v21, s7, v45
	v_lshrrev_b32_e32 v21, 2, v21
	v_and_b32_e32 v21, 2, v21
	s_waitcnt lgkmcnt(0)
	v_add_u16_e32 v20, 1, v109
	ds_write_b16 v111, v20
	v_bfe_u32 v20, v45, s7, 3
	v_mad_u32_u24 v20, v20, 6, v0
	v_lshl_or_b32 v114, v20, 2, v21
	ds_read_u16 v112, v114
	s_waitcnt lgkmcnt(0)
	v_add_u16_e32 v20, 1, v112
	ds_write_b16 v114, v20
	v_and_b32_e32 v20, 0xffff, v2
	v_lshrrev_b32_e32 v21, s7, v20
	v_bfe_u32 v20, v20, s7, 3
	v_lshrrev_b32_e32 v21, 2, v21
	v_mad_u32_u24 v20, v20, 6, v0
	v_and_b32_e32 v21, 2, v21
	v_lshl_or_b32 v115, v20, 2, v21
	ds_read_u16 v110, v115
	v_lshrrev_b32_e32 v21, s7, v46
	v_lshrrev_b32_e32 v21, 2, v21
	v_and_b32_e32 v21, 2, v21
	s_waitcnt lgkmcnt(0)
	v_add_u16_e32 v20, 1, v110
	ds_write_b16 v115, v20
	v_bfe_u32 v20, v46, s7, 3
	v_mad_u32_u24 v20, v20, 6, v0
	v_lshl_or_b32 v117, v20, 2, v21
	ds_read_u16 v113, v117
	s_waitcnt lgkmcnt(0)
	v_add_u16_e32 v20, 1, v113
	ds_write_b16 v117, v20
	v_and_b32_e32 v20, 0xffff, v3
	v_lshrrev_b32_e32 v21, s7, v20
	v_bfe_u32 v20, v20, s7, 3
	v_lshrrev_b32_e32 v21, 2, v21
	v_mad_u32_u24 v20, v20, 6, v0
	v_and_b32_e32 v21, 2, v21
	v_lshl_or_b32 v119, v20, 2, v21
	ds_read_u16 v116, v119
	v_lshrrev_b32_e32 v21, s7, v47
	v_lshrrev_b32_e32 v21, 2, v21
	v_and_b32_e32 v21, 2, v21
	s_waitcnt lgkmcnt(0)
	v_add_u16_e32 v20, 1, v116
	ds_write_b16 v119, v20
	v_bfe_u32 v20, v47, s7, 3
	v_mad_u32_u24 v20, v20, 6, v0
	v_lshl_or_b32 v121, v20, 2, v21
	ds_read_u16 v118, v121
	s_waitcnt lgkmcnt(0)
	v_add_u16_e32 v20, 1, v118
	ds_write_b16 v121, v20
	v_and_b32_e32 v20, 0xffff, v4
	v_lshrrev_b32_e32 v21, s7, v20
	v_bfe_u32 v20, v20, s7, 3
	v_lshrrev_b32_e32 v21, 2, v21
	v_mad_u32_u24 v20, v20, 6, v0
	v_and_b32_e32 v21, 2, v21
	v_lshl_or_b32 v122, v20, 2, v21
	ds_read_u16 v120, v122
	v_lshrrev_b32_e32 v21, s7, v48
	v_lshrrev_b32_e32 v21, 2, v21
	v_and_b32_e32 v21, 2, v21
	s_waitcnt lgkmcnt(0)
	v_add_u16_e32 v20, 1, v120
	ds_write_b16 v122, v20
	v_bfe_u32 v20, v48, s7, 3
	v_mad_u32_u24 v20, v20, 6, v0
	v_lshl_or_b32 v124, v20, 2, v21
	ds_read_u16 v123, v124
	s_waitcnt lgkmcnt(0)
	v_add_u16_e32 v20, 1, v123
	ds_write_b16 v124, v20
	v_and_b32_e32 v20, 0xffff, v5
	v_lshrrev_b32_e32 v21, s7, v20
	v_bfe_u32 v20, v20, s7, 3
	v_lshrrev_b32_e32 v21, 2, v21
	v_mad_u32_u24 v20, v20, 6, v0
	v_and_b32_e32 v21, 2, v21
	v_lshl_or_b32 v126, v20, 2, v21
	ds_read_u16 v125, v126
	v_lshrrev_b32_e32 v21, s7, v49
	v_lshrrev_b32_e32 v21, 2, v21
	v_and_b32_e32 v21, 2, v21
	s_waitcnt lgkmcnt(0)
	v_add_u16_e32 v20, 1, v125
	ds_write_b16 v126, v20
	v_bfe_u32 v20, v49, s7, 3
	v_mad_u32_u24 v20, v20, 6, v0
	v_lshl_or_b32 v128, v20, 2, v21
	ds_read_u16 v127, v128
	s_waitcnt lgkmcnt(0)
	v_add_u16_e32 v20, 1, v127
	ds_write_b16 v128, v20
	s_waitcnt lgkmcnt(0)
	; wave barrier
	s_waitcnt lgkmcnt(0)
	ds_read2_b32 v[26:27], v29 offset1:1
	ds_read2_b32 v[24:25], v29 offset0:2 offset1:3
	ds_read2_b32 v[20:21], v29 offset0:4 offset1:5
	;; [unrolled: 1-line block ×3, first 2 shown]
	s_waitcnt lgkmcnt(3)
	v_add_u32_e32 v61, v27, v26
	s_waitcnt lgkmcnt(2)
	v_add3_u32 v61, v61, v24, v25
	s_waitcnt lgkmcnt(1)
	v_add3_u32 v61, v61, v20, v21
	;; [unrolled: 2-line block ×3, first 2 shown]
	s_nop 1
	v_mov_b32_dpp v61, v23 row_shr:1 row_mask:0xf bank_mask:0xf
	v_cndmask_b32_e64 v61, v61, 0, s[8:9]
	v_add_u32_e32 v23, v61, v23
	s_nop 1
	v_mov_b32_dpp v61, v23 row_shr:2 row_mask:0xf bank_mask:0xf
	v_cndmask_b32_e64 v61, 0, v61, s[10:11]
	v_add_u32_e32 v23, v23, v61
	;; [unrolled: 4-line block ×3, first 2 shown]
	s_and_saveexec_b64 s[20:21], s[14:15]
	s_cbranch_execz .LBB4_15
; %bb.14:                               ;   in Loop: Header=BB4_6 Depth=1
	ds_write_b32 v33, v61 offset:192
.LBB4_15:                               ;   in Loop: Header=BB4_6 Depth=1
	s_or_b64 exec, exec, s[20:21]
	ds_bpermute_b32 v129, v31, v61
	s_waitcnt lgkmcnt(0)
	; wave barrier
	s_waitcnt lgkmcnt(0)
	ds_read_b32 v130, v33 offset:192
	v_mov_b32_e32 v87, v14
	v_cndmask_b32_e64 v129, v129, 0, s[16:17]
	v_mov_b32_e32 v85, v15
	v_mov_b32_e32 v83, v16
	s_waitcnt lgkmcnt(0)
	v_lshl_add_u32 v129, v130, 16, v129
	v_add_u32_e32 v26, v129, v26
	v_add_u32_e32 v27, v26, v27
	;; [unrolled: 1-line block ×7, first 2 shown]
	ds_write2_b32 v29, v129, v26 offset1:1
	ds_write2_b32 v29, v27, v24 offset0:2 offset1:3
	ds_write2_b32 v29, v25, v20 offset0:4 offset1:5
	;; [unrolled: 1-line block ×3, first 2 shown]
	s_waitcnt lgkmcnt(0)
	; wave barrier
	s_waitcnt lgkmcnt(0)
	ds_read_u16 v20, v52
	ds_read_u16 v21, v54
	;; [unrolled: 1-line block ×8, first 2 shown]
	s_waitcnt lgkmcnt(6)
	v_add_u32_sdwa v27, v21, v51 dst_sel:DWORD dst_unused:UNUSED_PAD src0_sel:DWORD src1_sel:WORD_0
	s_waitcnt lgkmcnt(5)
	v_add_u32_sdwa v26, v22, v53 dst_sel:DWORD dst_unused:UNUSED_PAD src0_sel:DWORD src1_sel:WORD_0
	;; [unrolled: 2-line block ×6, first 2 shown]
	ds_read_u16 v51, v77
	ds_read_u16 v52, v82
	;; [unrolled: 1-line block ×8, first 2 shown]
	v_add_u32_sdwa v50, v20, v50 dst_sel:DWORD dst_unused:UNUSED_PAD src0_sel:DWORD src1_sel:WORD_0
	s_waitcnt lgkmcnt(8)
	v_add_u32_sdwa v20, v58, v71 dst_sel:DWORD dst_unused:UNUSED_PAD src0_sel:DWORD src1_sel:WORD_0
	s_waitcnt lgkmcnt(7)
	;; [unrolled: 2-line block ×9, first 2 shown]
	v_add_u32_sdwa v51, v63, v96 dst_sel:DWORD dst_unused:UNUSED_PAD src0_sel:DWORD src1_sel:WORD_0
	ds_read_u16 v59, v99
	ds_read_u16 v60, v101
	;; [unrolled: 1-line block ×8, first 2 shown]
	s_waitcnt lgkmcnt(7)
	v_add_u32_sdwa v73, v59, v94 dst_sel:DWORD dst_unused:UNUSED_PAD src0_sel:DWORD src1_sel:WORD_0
	s_waitcnt lgkmcnt(6)
	v_add_u32_sdwa v71, v60, v97 dst_sel:DWORD dst_unused:UNUSED_PAD src0_sel:DWORD src1_sel:WORD_0
	;; [unrolled: 2-line block ×8, first 2 shown]
	ds_read_u16 v75, v115
	ds_read_u16 v77, v117
	;; [unrolled: 1-line block ×8, first 2 shown]
	v_mov_b32_e32 v81, v17
	v_mov_b32_e32 v80, v10
	;; [unrolled: 1-line block ×13, first 2 shown]
	s_waitcnt lgkmcnt(7)
	v_add_u32_sdwa v89, v75, v110 dst_sel:DWORD dst_unused:UNUSED_PAD src0_sel:DWORD src1_sel:WORD_0
	s_waitcnt lgkmcnt(6)
	v_add_u32_sdwa v88, v77, v113 dst_sel:DWORD dst_unused:UNUSED_PAD src0_sel:DWORD src1_sel:WORD_0
	s_waitcnt lgkmcnt(5)
	v_add_u32_sdwa v86, v79, v116 dst_sel:DWORD dst_unused:UNUSED_PAD src0_sel:DWORD src1_sel:WORD_0
	s_waitcnt lgkmcnt(4)
	v_add_u32_sdwa v84, v82, v118 dst_sel:DWORD dst_unused:UNUSED_PAD src0_sel:DWORD src1_sel:WORD_0
	s_waitcnt lgkmcnt(3)
	v_add_u32_sdwa v82, v90, v120 dst_sel:DWORD dst_unused:UNUSED_PAD src0_sel:DWORD src1_sel:WORD_0
	s_waitcnt lgkmcnt(2)
	v_add_u32_sdwa v77, v91, v123 dst_sel:DWORD dst_unused:UNUSED_PAD src0_sel:DWORD src1_sel:WORD_0
	s_waitcnt lgkmcnt(1)
	v_add_u32_sdwa v75, v92, v125 dst_sel:DWORD dst_unused:UNUSED_PAD src0_sel:DWORD src1_sel:WORD_0
	s_cmp_gt_u32 s7, 11
	s_waitcnt lgkmcnt(0)
	v_add_u32_sdwa v79, v93, v127 dst_sel:DWORD dst_unused:UNUSED_PAD src0_sel:DWORD src1_sel:WORD_0
	s_cbranch_scc0 .LBB4_5
; %bb.16:
                                        ; implicit-def: $vgpr14
                                        ; implicit-def: $vgpr10
                                        ; implicit-def: $vgpr6
                                        ; implicit-def: $vgpr2
                                        ; implicit-def: $sgpr7
.LBB4_17:
	v_lshlrev_b32_e32 v1, 1, v50
	s_waitcnt lgkmcnt(0)
	; wave barrier
	ds_write_b16 v1, v87
	v_lshlrev_b32_e32 v1, 1, v27
	ds_write_b16 v1, v34
	v_lshlrev_b32_e32 v1, 1, v26
	ds_write_b16 v1, v85
	v_lshlrev_b32_e32 v1, 1, v25
	ds_write_b16 v1, v35
	v_lshlrev_b32_e32 v1, 1, v24
	ds_write_b16 v1, v83
	v_lshlrev_b32_e32 v1, 1, v22
	ds_write_b16 v1, v36
	v_lshlrev_b32_e32 v1, 1, v21
	ds_write_b16 v1, v81
	v_lshlrev_b32_e32 v1, 1, v20
	ds_write_b16 v1, v37
	v_lshlrev_b32_e32 v1, 1, v58
	ds_write_b16 v1, v80
	v_lshlrev_b32_e32 v1, 1, v57
	ds_write_b16 v1, v38
	v_lshlrev_b32_e32 v1, 1, v56
	ds_write_b16 v1, v78
	v_lshlrev_b32_e32 v1, 1, v55
	ds_write_b16 v1, v39
	v_lshlrev_b32_e32 v1, 1, v54
	ds_write_b16 v1, v76
	v_lshlrev_b32_e32 v1, 1, v53
	ds_write_b16 v1, v40
	v_lshlrev_b32_e32 v1, 1, v52
	ds_write_b16 v1, v74
	v_lshlrev_b32_e32 v1, 1, v51
	ds_write_b16 v1, v41
	v_lshlrev_b32_e32 v1, 1, v73
	ds_write_b16 v1, v72
	v_lshlrev_b32_e32 v1, 1, v71
	ds_write_b16 v1, v42
	v_lshlrev_b32_e32 v1, 1, v70
	ds_write_b16 v1, v69
	v_lshlrev_b32_e32 v1, 1, v66
	ds_write_b16 v1, v43
	v_lshlrev_b32_e32 v1, 1, v63
	ds_write_b16 v1, v67
	v_lshlrev_b32_e32 v1, 1, v62
	ds_write_b16 v1, v44
	v_lshlrev_b32_e32 v1, 1, v60
	ds_write_b16 v1, v64
	v_lshlrev_b32_e32 v1, 1, v59
	ds_write_b16 v1, v45
	v_lshlrev_b32_e32 v1, 1, v89
	ds_write_b16 v1, v23
	v_lshlrev_b32_e32 v1, 1, v88
	ds_write_b16 v1, v46
	v_lshlrev_b32_e32 v1, 1, v86
	ds_write_b16 v1, v68
	v_lshlrev_b32_e32 v1, 1, v84
	ds_write_b16 v1, v47
	v_lshlrev_b32_e32 v1, 1, v82
	ds_write_b16 v1, v65
	v_lshlrev_b32_e32 v1, 1, v77
	ds_write_b16 v1, v48
	v_lshlrev_b32_e32 v1, 1, v75
	ds_write_b16 v1, v61
	v_lshlrev_b32_e32 v1, 1, v79
	ds_write_b16 v1, v49
	s_waitcnt lgkmcnt(0)
	; wave barrier
	s_waitcnt lgkmcnt(0)
	ds_read_b128 v[2:5], v30
	ds_read_b128 v[6:9], v30 offset:16
	ds_read_b128 v[10:13], v30 offset:32
	;; [unrolled: 1-line block ×3, first 2 shown]
	s_waitcnt lgkmcnt(0)
	; wave barrier
	s_waitcnt lgkmcnt(0)
	s_and_saveexec_b64 s[8:9], s[4:5]
	s_cbranch_execz .LBB4_20
; %bb.18:
	v_lshl_add_u32 v1, v0, 2, 24
	s_mov_b64 s[10:11], 0
	v_mov_b32_e32 v18, 0xc0
	v_mov_b32_e32 v19, v0
.LBB4_19:                               ; =>This Inner Loop Header: Depth=1
	v_add_u32_e32 v19, 6, v19
	v_cmp_lt_u32_e32 vcc, 17, v19
	ds_write2_b32 v1, v18, v18 offset1:18
	s_or_b64 s[10:11], vcc, s[10:11]
	v_add_u32_e32 v1, 24, v1
	s_andn2_b64 exec, exec, s[10:11]
	s_cbranch_execnz .LBB4_19
.LBB4_20:
	s_or_b64 exec, exec, s[8:9]
	v_lshrrev_b32_e32 v1, 16, v17
	v_cmp_ne_u16_e32 vcc, v17, v1
	s_waitcnt lgkmcnt(0)
	; wave barrier
	s_waitcnt lgkmcnt(0)
	ds_write_b16 v28, v1
	s_and_saveexec_b64 s[8:9], vcc
	s_cbranch_execnz .LBB4_67
; %bb.21:
	s_or_b64 exec, exec, s[8:9]
	v_cmp_ne_u16_sdwa s[10:11], v16, v17 src0_sel:WORD_1 src1_sel:DWORD
	s_and_saveexec_b64 s[8:9], s[10:11]
	s_cbranch_execnz .LBB4_68
.LBB4_22:
	s_or_b64 exec, exec, s[8:9]
	v_cmp_ne_u16_sdwa s[10:11], v16, v16 src0_sel:DWORD src1_sel:WORD_1
	s_and_saveexec_b64 s[8:9], s[10:11]
	s_cbranch_execnz .LBB4_69
.LBB4_23:
	s_or_b64 exec, exec, s[8:9]
	v_cmp_ne_u16_sdwa s[10:11], v15, v16 src0_sel:WORD_1 src1_sel:DWORD
	s_and_saveexec_b64 s[8:9], s[10:11]
	s_cbranch_execnz .LBB4_70
.LBB4_24:
	s_or_b64 exec, exec, s[8:9]
	v_cmp_ne_u16_sdwa s[10:11], v15, v15 src0_sel:DWORD src1_sel:WORD_1
	s_and_saveexec_b64 s[8:9], s[10:11]
	s_cbranch_execnz .LBB4_71
.LBB4_25:
	s_or_b64 exec, exec, s[8:9]
	v_cmp_ne_u16_sdwa s[10:11], v14, v15 src0_sel:WORD_1 src1_sel:DWORD
	s_and_saveexec_b64 s[8:9], s[10:11]
	s_cbranch_execnz .LBB4_72
.LBB4_26:
	s_or_b64 exec, exec, s[8:9]
	v_cmp_ne_u16_sdwa s[10:11], v14, v14 src0_sel:DWORD src1_sel:WORD_1
	s_and_saveexec_b64 s[8:9], s[10:11]
	s_cbranch_execnz .LBB4_73
.LBB4_27:
	s_or_b64 exec, exec, s[8:9]
	v_cmp_ne_u16_sdwa s[10:11], v13, v14 src0_sel:WORD_1 src1_sel:DWORD
	s_and_saveexec_b64 s[8:9], s[10:11]
	s_cbranch_execnz .LBB4_74
.LBB4_28:
	s_or_b64 exec, exec, s[8:9]
	v_cmp_ne_u16_sdwa s[10:11], v13, v13 src0_sel:DWORD src1_sel:WORD_1
	s_and_saveexec_b64 s[8:9], s[10:11]
	s_cbranch_execnz .LBB4_75
.LBB4_29:
	s_or_b64 exec, exec, s[8:9]
	v_cmp_ne_u16_sdwa s[10:11], v12, v13 src0_sel:WORD_1 src1_sel:DWORD
	s_and_saveexec_b64 s[8:9], s[10:11]
	s_cbranch_execnz .LBB4_76
.LBB4_30:
	s_or_b64 exec, exec, s[8:9]
	v_cmp_ne_u16_sdwa s[10:11], v12, v12 src0_sel:DWORD src1_sel:WORD_1
	s_and_saveexec_b64 s[8:9], s[10:11]
	s_cbranch_execnz .LBB4_77
.LBB4_31:
	s_or_b64 exec, exec, s[8:9]
	v_cmp_ne_u16_sdwa s[10:11], v11, v12 src0_sel:WORD_1 src1_sel:DWORD
	s_and_saveexec_b64 s[8:9], s[10:11]
	s_cbranch_execnz .LBB4_78
.LBB4_32:
	s_or_b64 exec, exec, s[8:9]
	v_cmp_ne_u16_sdwa s[10:11], v11, v11 src0_sel:DWORD src1_sel:WORD_1
	s_and_saveexec_b64 s[8:9], s[10:11]
	s_cbranch_execnz .LBB4_79
.LBB4_33:
	s_or_b64 exec, exec, s[8:9]
	v_cmp_ne_u16_sdwa s[10:11], v10, v11 src0_sel:WORD_1 src1_sel:DWORD
	s_and_saveexec_b64 s[8:9], s[10:11]
	s_cbranch_execnz .LBB4_80
.LBB4_34:
	s_or_b64 exec, exec, s[8:9]
	v_cmp_ne_u16_sdwa s[10:11], v10, v10 src0_sel:DWORD src1_sel:WORD_1
	s_and_saveexec_b64 s[8:9], s[10:11]
	s_cbranch_execnz .LBB4_81
.LBB4_35:
	s_or_b64 exec, exec, s[8:9]
	v_cmp_ne_u16_sdwa s[10:11], v9, v10 src0_sel:WORD_1 src1_sel:DWORD
	s_and_saveexec_b64 s[8:9], s[10:11]
	s_cbranch_execnz .LBB4_82
.LBB4_36:
	s_or_b64 exec, exec, s[8:9]
	v_cmp_ne_u16_sdwa s[10:11], v9, v9 src0_sel:DWORD src1_sel:WORD_1
	s_and_saveexec_b64 s[8:9], s[10:11]
	s_cbranch_execnz .LBB4_83
.LBB4_37:
	s_or_b64 exec, exec, s[8:9]
	v_cmp_ne_u16_sdwa s[10:11], v8, v9 src0_sel:WORD_1 src1_sel:DWORD
	s_and_saveexec_b64 s[8:9], s[10:11]
	s_cbranch_execnz .LBB4_84
.LBB4_38:
	s_or_b64 exec, exec, s[8:9]
	v_cmp_ne_u16_sdwa s[10:11], v8, v8 src0_sel:DWORD src1_sel:WORD_1
	s_and_saveexec_b64 s[8:9], s[10:11]
	s_cbranch_execnz .LBB4_85
.LBB4_39:
	s_or_b64 exec, exec, s[8:9]
	v_cmp_ne_u16_sdwa s[10:11], v7, v8 src0_sel:WORD_1 src1_sel:DWORD
	s_and_saveexec_b64 s[8:9], s[10:11]
	s_cbranch_execnz .LBB4_86
.LBB4_40:
	s_or_b64 exec, exec, s[8:9]
	v_cmp_ne_u16_sdwa s[10:11], v7, v7 src0_sel:DWORD src1_sel:WORD_1
	s_and_saveexec_b64 s[8:9], s[10:11]
	s_cbranch_execnz .LBB4_87
.LBB4_41:
	s_or_b64 exec, exec, s[8:9]
	v_cmp_ne_u16_sdwa s[10:11], v6, v7 src0_sel:WORD_1 src1_sel:DWORD
	s_and_saveexec_b64 s[8:9], s[10:11]
	s_cbranch_execnz .LBB4_88
.LBB4_42:
	s_or_b64 exec, exec, s[8:9]
	v_cmp_ne_u16_sdwa s[10:11], v6, v6 src0_sel:DWORD src1_sel:WORD_1
	s_and_saveexec_b64 s[8:9], s[10:11]
	s_cbranch_execnz .LBB4_89
.LBB4_43:
	s_or_b64 exec, exec, s[8:9]
	v_cmp_ne_u16_sdwa s[10:11], v5, v6 src0_sel:WORD_1 src1_sel:DWORD
	s_and_saveexec_b64 s[8:9], s[10:11]
	s_cbranch_execnz .LBB4_90
.LBB4_44:
	s_or_b64 exec, exec, s[8:9]
	v_cmp_ne_u16_sdwa s[10:11], v5, v5 src0_sel:DWORD src1_sel:WORD_1
	s_and_saveexec_b64 s[8:9], s[10:11]
	s_cbranch_execnz .LBB4_91
.LBB4_45:
	s_or_b64 exec, exec, s[8:9]
	v_cmp_ne_u16_sdwa s[10:11], v4, v5 src0_sel:WORD_1 src1_sel:DWORD
	s_and_saveexec_b64 s[8:9], s[10:11]
	s_cbranch_execnz .LBB4_92
.LBB4_46:
	s_or_b64 exec, exec, s[8:9]
	v_cmp_ne_u16_sdwa s[10:11], v4, v4 src0_sel:DWORD src1_sel:WORD_1
	s_and_saveexec_b64 s[8:9], s[10:11]
	s_cbranch_execnz .LBB4_93
.LBB4_47:
	s_or_b64 exec, exec, s[8:9]
	v_cmp_ne_u16_sdwa s[10:11], v3, v4 src0_sel:WORD_1 src1_sel:DWORD
	s_and_saveexec_b64 s[8:9], s[10:11]
	s_cbranch_execnz .LBB4_94
.LBB4_48:
	s_or_b64 exec, exec, s[8:9]
	v_cmp_ne_u16_sdwa s[10:11], v3, v3 src0_sel:DWORD src1_sel:WORD_1
	s_and_saveexec_b64 s[8:9], s[10:11]
	s_cbranch_execnz .LBB4_95
.LBB4_49:
	s_or_b64 exec, exec, s[8:9]
	v_cmp_ne_u16_sdwa s[10:11], v2, v3 src0_sel:WORD_1 src1_sel:DWORD
	s_and_saveexec_b64 s[8:9], s[10:11]
	s_cbranch_execnz .LBB4_96
.LBB4_50:
	s_or_b64 exec, exec, s[8:9]
	v_cmp_ne_u16_sdwa s[10:11], v2, v2 src0_sel:DWORD src1_sel:WORD_1
	s_and_saveexec_b64 s[8:9], s[10:11]
	s_cbranch_execz .LBB4_52
.LBB4_51:
	s_mov_b32 s7, 0xffff
	v_and_b32_sdwa v4, s7, v2 dst_sel:DWORD dst_unused:UNUSED_PAD src0_sel:DWORD src1_sel:WORD_1
	v_or_b32_e32 v1, 1, v29
	v_mov_b32_e32 v3, 2
	v_lshlrev_b32_e32 v4, 2, v4
	v_lshlrev_b32_sdwa v3, v3, v2 dst_sel:DWORD dst_unused:UNUSED_PAD src0_sel:DWORD src1_sel:WORD_0
	ds_write_b32 v4, v1 offset:24
	ds_write_b32 v3, v1 offset:96
.LBB4_52:
	s_or_b64 exec, exec, s[8:9]
	v_cmp_eq_u32_e32 vcc, 0, v0
	v_cmp_ne_u32_e64 s[8:9], 0, v0
	s_waitcnt lgkmcnt(0)
	; wave barrier
	s_waitcnt lgkmcnt(0)
	s_and_saveexec_b64 s[10:11], s[8:9]
	s_cbranch_execz .LBB4_55
; %bb.53:
	v_add_u32_e32 v1, -2, v28
	ds_read_u16 v3, v1
	s_waitcnt lgkmcnt(0)
	v_cmp_ne_u16_e64 s[8:9], v3, v2
	s_and_b64 exec, exec, s[8:9]
	s_cbranch_execz .LBB4_55
; %bb.54:
	v_mov_b32_e32 v3, 2
	v_lshlrev_b32_sdwa v3, v3, v2 dst_sel:DWORD dst_unused:UNUSED_PAD src0_sel:DWORD src1_sel:WORD_0
	ds_write_b32 v3, v29 offset:24
	ds_read_u16 v1, v1
	s_waitcnt lgkmcnt(0)
	v_lshlrev_b32_e32 v1, 2, v1
	ds_write_b32 v1, v29 offset:96
.LBB4_55:
	s_or_b64 exec, exec, s[10:11]
	s_waitcnt lgkmcnt(0)
	; wave barrier
	s_waitcnt lgkmcnt(0)
	s_and_saveexec_b64 s[8:9], vcc
	s_cbranch_execz .LBB4_57
; %bb.56:
	v_mov_b32_e32 v1, 2
	v_lshlrev_b32_sdwa v1, v1, v2 dst_sel:DWORD dst_unused:UNUSED_PAD src0_sel:DWORD src1_sel:WORD_0
	v_mov_b32_e32 v2, 0
	ds_write_b32 v1, v2 offset:24
.LBB4_57:
	s_or_b64 exec, exec, s[8:9]
	v_lshlrev_b32_e32 v1, 2, v0
	s_waitcnt lgkmcnt(0)
	; wave barrier
	s_waitcnt lgkmcnt(0)
	s_and_saveexec_b64 s[8:9], s[4:5]
	s_cbranch_execnz .LBB4_97
; %bb.58:
	s_or_b64 exec, exec, s[8:9]
	s_and_saveexec_b64 s[8:9], s[2:3]
	s_cbranch_execnz .LBB4_98
.LBB4_59:
	s_or_b64 exec, exec, s[8:9]
	s_and_saveexec_b64 s[8:9], s[0:1]
	s_cbranch_execz .LBB4_61
.LBB4_60:
	ds_read2_b32 v[2:3], v1 offset0:18 offset1:36
	ds_read_u16 v1, v28 offset:408
	s_waitcnt lgkmcnt(1)
	v_sub_u32_e32 v2, v3, v2
	s_waitcnt lgkmcnt(0)
	v_add_u16_e32 v1, v1, v2
	ds_write_b16 v28, v1 offset:408
.LBB4_61:
	s_or_b64 exec, exec, s[8:9]
	s_mul_i32 s8, s6, 18
	v_mov_b32_e32 v1, s8
	s_waitcnt lgkmcnt(0)
	; wave barrier
	s_waitcnt lgkmcnt(0)
	s_and_saveexec_b64 s[6:7], s[4:5]
	s_cbranch_execnz .LBB4_99
; %bb.62:
	s_or_b64 exec, exec, s[6:7]
	s_and_saveexec_b64 s[4:5], s[2:3]
	s_cbranch_execnz .LBB4_100
.LBB4_63:
	s_or_b64 exec, exec, s[4:5]
	s_and_saveexec_b64 s[2:3], s[0:1]
	s_cbranch_execnz .LBB4_101
.LBB4_64:
	s_endpgm
.LBB4_65:
	ds_write_b16 v28, v19 offset:384
	s_or_b64 exec, exec, s[0:1]
	v_cmp_gt_u32_e64 s[2:3], 12, v0
	s_and_saveexec_b64 s[0:1], s[2:3]
	s_cbranch_execz .LBB4_2
.LBB4_66:
	v_mov_b32_e32 v1, 0
	ds_write_b16 v28, v1 offset:396
	s_or_b64 exec, exec, s[0:1]
	v_cmp_gt_u32_e64 s[0:1], 6, v0
	s_and_saveexec_b64 s[8:9], s[0:1]
	s_cbranch_execnz .LBB4_3
	s_branch .LBB4_4
.LBB4_67:
	v_mov_b32_e32 v19, 2
	v_or_b32_e32 v18, 31, v29
	v_lshlrev_b32_sdwa v1, v19, v1 dst_sel:DWORD dst_unused:UNUSED_PAD src0_sel:DWORD src1_sel:WORD_0
	v_lshlrev_b32_sdwa v20, v19, v17 dst_sel:DWORD dst_unused:UNUSED_PAD src0_sel:DWORD src1_sel:WORD_0
	ds_write_b32 v1, v18 offset:24
	ds_write_b32 v20, v18 offset:96
	s_or_b64 exec, exec, s[8:9]
	v_cmp_ne_u16_sdwa s[10:11], v16, v17 src0_sel:WORD_1 src1_sel:DWORD
	s_and_saveexec_b64 s[8:9], s[10:11]
	s_cbranch_execz .LBB4_22
.LBB4_68:
	s_mov_b32 s7, 0xffff
	v_mov_b32_e32 v19, 2
	v_or_b32_e32 v1, 30, v29
	v_and_b32_sdwa v18, s7, v16 dst_sel:DWORD dst_unused:UNUSED_PAD src0_sel:DWORD src1_sel:WORD_1
	v_lshlrev_b32_sdwa v17, v19, v17 dst_sel:DWORD dst_unused:UNUSED_PAD src0_sel:DWORD src1_sel:WORD_0
	v_lshlrev_b32_e32 v18, 2, v18
	ds_write_b32 v17, v1 offset:24
	ds_write_b32 v18, v1 offset:96
	s_or_b64 exec, exec, s[8:9]
	v_cmp_ne_u16_sdwa s[10:11], v16, v16 src0_sel:DWORD src1_sel:WORD_1
	s_and_saveexec_b64 s[8:9], s[10:11]
	s_cbranch_execz .LBB4_23
.LBB4_69:
	s_mov_b32 s7, 0xffff
	v_and_b32_sdwa v18, s7, v16 dst_sel:DWORD dst_unused:UNUSED_PAD src0_sel:DWORD src1_sel:WORD_1
	v_or_b32_e32 v1, 29, v29
	v_mov_b32_e32 v17, 2
	v_lshlrev_b32_e32 v18, 2, v18
	v_lshlrev_b32_sdwa v17, v17, v16 dst_sel:DWORD dst_unused:UNUSED_PAD src0_sel:DWORD src1_sel:WORD_0
	ds_write_b32 v18, v1 offset:24
	ds_write_b32 v17, v1 offset:96
	s_or_b64 exec, exec, s[8:9]
	v_cmp_ne_u16_sdwa s[10:11], v15, v16 src0_sel:WORD_1 src1_sel:DWORD
	s_and_saveexec_b64 s[8:9], s[10:11]
	s_cbranch_execz .LBB4_24
.LBB4_70:
	s_mov_b32 s7, 0xffff
	v_mov_b32_e32 v18, 2
	v_or_b32_e32 v1, 28, v29
	v_and_b32_sdwa v17, s7, v15 dst_sel:DWORD dst_unused:UNUSED_PAD src0_sel:DWORD src1_sel:WORD_1
	v_lshlrev_b32_sdwa v16, v18, v16 dst_sel:DWORD dst_unused:UNUSED_PAD src0_sel:DWORD src1_sel:WORD_0
	v_lshlrev_b32_e32 v17, 2, v17
	ds_write_b32 v16, v1 offset:24
	ds_write_b32 v17, v1 offset:96
	s_or_b64 exec, exec, s[8:9]
	v_cmp_ne_u16_sdwa s[10:11], v15, v15 src0_sel:DWORD src1_sel:WORD_1
	s_and_saveexec_b64 s[8:9], s[10:11]
	s_cbranch_execz .LBB4_25
.LBB4_71:
	s_mov_b32 s7, 0xffff
	v_and_b32_sdwa v17, s7, v15 dst_sel:DWORD dst_unused:UNUSED_PAD src0_sel:DWORD src1_sel:WORD_1
	v_or_b32_e32 v1, 27, v29
	v_mov_b32_e32 v16, 2
	v_lshlrev_b32_e32 v17, 2, v17
	v_lshlrev_b32_sdwa v16, v16, v15 dst_sel:DWORD dst_unused:UNUSED_PAD src0_sel:DWORD src1_sel:WORD_0
	ds_write_b32 v17, v1 offset:24
	ds_write_b32 v16, v1 offset:96
	s_or_b64 exec, exec, s[8:9]
	v_cmp_ne_u16_sdwa s[10:11], v14, v15 src0_sel:WORD_1 src1_sel:DWORD
	s_and_saveexec_b64 s[8:9], s[10:11]
	s_cbranch_execz .LBB4_26
.LBB4_72:
	s_mov_b32 s7, 0xffff
	v_mov_b32_e32 v17, 2
	v_or_b32_e32 v1, 26, v29
	v_and_b32_sdwa v16, s7, v14 dst_sel:DWORD dst_unused:UNUSED_PAD src0_sel:DWORD src1_sel:WORD_1
	v_lshlrev_b32_sdwa v15, v17, v15 dst_sel:DWORD dst_unused:UNUSED_PAD src0_sel:DWORD src1_sel:WORD_0
	v_lshlrev_b32_e32 v16, 2, v16
	ds_write_b32 v15, v1 offset:24
	ds_write_b32 v16, v1 offset:96
	s_or_b64 exec, exec, s[8:9]
	v_cmp_ne_u16_sdwa s[10:11], v14, v14 src0_sel:DWORD src1_sel:WORD_1
	s_and_saveexec_b64 s[8:9], s[10:11]
	s_cbranch_execz .LBB4_27
.LBB4_73:
	s_mov_b32 s7, 0xffff
	v_and_b32_sdwa v16, s7, v14 dst_sel:DWORD dst_unused:UNUSED_PAD src0_sel:DWORD src1_sel:WORD_1
	v_or_b32_e32 v1, 25, v29
	v_mov_b32_e32 v15, 2
	v_lshlrev_b32_e32 v16, 2, v16
	v_lshlrev_b32_sdwa v15, v15, v14 dst_sel:DWORD dst_unused:UNUSED_PAD src0_sel:DWORD src1_sel:WORD_0
	ds_write_b32 v16, v1 offset:24
	ds_write_b32 v15, v1 offset:96
	s_or_b64 exec, exec, s[8:9]
	v_cmp_ne_u16_sdwa s[10:11], v13, v14 src0_sel:WORD_1 src1_sel:DWORD
	s_and_saveexec_b64 s[8:9], s[10:11]
	s_cbranch_execz .LBB4_28
.LBB4_74:
	s_mov_b32 s7, 0xffff
	v_mov_b32_e32 v16, 2
	v_or_b32_e32 v1, 24, v29
	v_and_b32_sdwa v15, s7, v13 dst_sel:DWORD dst_unused:UNUSED_PAD src0_sel:DWORD src1_sel:WORD_1
	v_lshlrev_b32_sdwa v14, v16, v14 dst_sel:DWORD dst_unused:UNUSED_PAD src0_sel:DWORD src1_sel:WORD_0
	v_lshlrev_b32_e32 v15, 2, v15
	ds_write_b32 v14, v1 offset:24
	ds_write_b32 v15, v1 offset:96
	s_or_b64 exec, exec, s[8:9]
	v_cmp_ne_u16_sdwa s[10:11], v13, v13 src0_sel:DWORD src1_sel:WORD_1
	s_and_saveexec_b64 s[8:9], s[10:11]
	s_cbranch_execz .LBB4_29
.LBB4_75:
	s_mov_b32 s7, 0xffff
	v_and_b32_sdwa v15, s7, v13 dst_sel:DWORD dst_unused:UNUSED_PAD src0_sel:DWORD src1_sel:WORD_1
	v_or_b32_e32 v1, 23, v29
	v_mov_b32_e32 v14, 2
	v_lshlrev_b32_e32 v15, 2, v15
	v_lshlrev_b32_sdwa v14, v14, v13 dst_sel:DWORD dst_unused:UNUSED_PAD src0_sel:DWORD src1_sel:WORD_0
	ds_write_b32 v15, v1 offset:24
	ds_write_b32 v14, v1 offset:96
	s_or_b64 exec, exec, s[8:9]
	v_cmp_ne_u16_sdwa s[10:11], v12, v13 src0_sel:WORD_1 src1_sel:DWORD
	s_and_saveexec_b64 s[8:9], s[10:11]
	s_cbranch_execz .LBB4_30
.LBB4_76:
	s_mov_b32 s7, 0xffff
	v_mov_b32_e32 v15, 2
	v_or_b32_e32 v1, 22, v29
	v_and_b32_sdwa v14, s7, v12 dst_sel:DWORD dst_unused:UNUSED_PAD src0_sel:DWORD src1_sel:WORD_1
	v_lshlrev_b32_sdwa v13, v15, v13 dst_sel:DWORD dst_unused:UNUSED_PAD src0_sel:DWORD src1_sel:WORD_0
	v_lshlrev_b32_e32 v14, 2, v14
	ds_write_b32 v13, v1 offset:24
	ds_write_b32 v14, v1 offset:96
	s_or_b64 exec, exec, s[8:9]
	v_cmp_ne_u16_sdwa s[10:11], v12, v12 src0_sel:DWORD src1_sel:WORD_1
	s_and_saveexec_b64 s[8:9], s[10:11]
	s_cbranch_execz .LBB4_31
.LBB4_77:
	s_mov_b32 s7, 0xffff
	v_and_b32_sdwa v14, s7, v12 dst_sel:DWORD dst_unused:UNUSED_PAD src0_sel:DWORD src1_sel:WORD_1
	v_or_b32_e32 v1, 21, v29
	v_mov_b32_e32 v13, 2
	v_lshlrev_b32_e32 v14, 2, v14
	v_lshlrev_b32_sdwa v13, v13, v12 dst_sel:DWORD dst_unused:UNUSED_PAD src0_sel:DWORD src1_sel:WORD_0
	ds_write_b32 v14, v1 offset:24
	ds_write_b32 v13, v1 offset:96
	s_or_b64 exec, exec, s[8:9]
	v_cmp_ne_u16_sdwa s[10:11], v11, v12 src0_sel:WORD_1 src1_sel:DWORD
	s_and_saveexec_b64 s[8:9], s[10:11]
	s_cbranch_execz .LBB4_32
.LBB4_78:
	s_mov_b32 s7, 0xffff
	v_mov_b32_e32 v14, 2
	v_or_b32_e32 v1, 20, v29
	v_and_b32_sdwa v13, s7, v11 dst_sel:DWORD dst_unused:UNUSED_PAD src0_sel:DWORD src1_sel:WORD_1
	v_lshlrev_b32_sdwa v12, v14, v12 dst_sel:DWORD dst_unused:UNUSED_PAD src0_sel:DWORD src1_sel:WORD_0
	v_lshlrev_b32_e32 v13, 2, v13
	ds_write_b32 v12, v1 offset:24
	ds_write_b32 v13, v1 offset:96
	s_or_b64 exec, exec, s[8:9]
	v_cmp_ne_u16_sdwa s[10:11], v11, v11 src0_sel:DWORD src1_sel:WORD_1
	s_and_saveexec_b64 s[8:9], s[10:11]
	s_cbranch_execz .LBB4_33
.LBB4_79:
	s_mov_b32 s7, 0xffff
	v_and_b32_sdwa v13, s7, v11 dst_sel:DWORD dst_unused:UNUSED_PAD src0_sel:DWORD src1_sel:WORD_1
	v_or_b32_e32 v1, 19, v29
	v_mov_b32_e32 v12, 2
	v_lshlrev_b32_e32 v13, 2, v13
	v_lshlrev_b32_sdwa v12, v12, v11 dst_sel:DWORD dst_unused:UNUSED_PAD src0_sel:DWORD src1_sel:WORD_0
	ds_write_b32 v13, v1 offset:24
	ds_write_b32 v12, v1 offset:96
	s_or_b64 exec, exec, s[8:9]
	v_cmp_ne_u16_sdwa s[10:11], v10, v11 src0_sel:WORD_1 src1_sel:DWORD
	s_and_saveexec_b64 s[8:9], s[10:11]
	s_cbranch_execz .LBB4_34
.LBB4_80:
	s_mov_b32 s7, 0xffff
	v_mov_b32_e32 v13, 2
	v_or_b32_e32 v1, 18, v29
	v_and_b32_sdwa v12, s7, v10 dst_sel:DWORD dst_unused:UNUSED_PAD src0_sel:DWORD src1_sel:WORD_1
	v_lshlrev_b32_sdwa v11, v13, v11 dst_sel:DWORD dst_unused:UNUSED_PAD src0_sel:DWORD src1_sel:WORD_0
	v_lshlrev_b32_e32 v12, 2, v12
	ds_write_b32 v11, v1 offset:24
	ds_write_b32 v12, v1 offset:96
	s_or_b64 exec, exec, s[8:9]
	v_cmp_ne_u16_sdwa s[10:11], v10, v10 src0_sel:DWORD src1_sel:WORD_1
	s_and_saveexec_b64 s[8:9], s[10:11]
	s_cbranch_execz .LBB4_35
.LBB4_81:
	s_mov_b32 s7, 0xffff
	v_and_b32_sdwa v12, s7, v10 dst_sel:DWORD dst_unused:UNUSED_PAD src0_sel:DWORD src1_sel:WORD_1
	v_or_b32_e32 v1, 17, v29
	v_mov_b32_e32 v11, 2
	v_lshlrev_b32_e32 v12, 2, v12
	v_lshlrev_b32_sdwa v11, v11, v10 dst_sel:DWORD dst_unused:UNUSED_PAD src0_sel:DWORD src1_sel:WORD_0
	ds_write_b32 v12, v1 offset:24
	ds_write_b32 v11, v1 offset:96
	s_or_b64 exec, exec, s[8:9]
	v_cmp_ne_u16_sdwa s[10:11], v9, v10 src0_sel:WORD_1 src1_sel:DWORD
	s_and_saveexec_b64 s[8:9], s[10:11]
	s_cbranch_execz .LBB4_36
.LBB4_82:
	s_mov_b32 s7, 0xffff
	v_mov_b32_e32 v12, 2
	v_or_b32_e32 v1, 16, v29
	v_and_b32_sdwa v11, s7, v9 dst_sel:DWORD dst_unused:UNUSED_PAD src0_sel:DWORD src1_sel:WORD_1
	v_lshlrev_b32_sdwa v10, v12, v10 dst_sel:DWORD dst_unused:UNUSED_PAD src0_sel:DWORD src1_sel:WORD_0
	v_lshlrev_b32_e32 v11, 2, v11
	ds_write_b32 v10, v1 offset:24
	ds_write_b32 v11, v1 offset:96
	s_or_b64 exec, exec, s[8:9]
	v_cmp_ne_u16_sdwa s[10:11], v9, v9 src0_sel:DWORD src1_sel:WORD_1
	s_and_saveexec_b64 s[8:9], s[10:11]
	s_cbranch_execz .LBB4_37
.LBB4_83:
	s_mov_b32 s7, 0xffff
	v_and_b32_sdwa v11, s7, v9 dst_sel:DWORD dst_unused:UNUSED_PAD src0_sel:DWORD src1_sel:WORD_1
	v_or_b32_e32 v1, 15, v29
	v_mov_b32_e32 v10, 2
	v_lshlrev_b32_e32 v11, 2, v11
	v_lshlrev_b32_sdwa v10, v10, v9 dst_sel:DWORD dst_unused:UNUSED_PAD src0_sel:DWORD src1_sel:WORD_0
	ds_write_b32 v11, v1 offset:24
	ds_write_b32 v10, v1 offset:96
	s_or_b64 exec, exec, s[8:9]
	v_cmp_ne_u16_sdwa s[10:11], v8, v9 src0_sel:WORD_1 src1_sel:DWORD
	s_and_saveexec_b64 s[8:9], s[10:11]
	s_cbranch_execz .LBB4_38
.LBB4_84:
	s_mov_b32 s7, 0xffff
	v_mov_b32_e32 v11, 2
	v_or_b32_e32 v1, 14, v29
	v_and_b32_sdwa v10, s7, v8 dst_sel:DWORD dst_unused:UNUSED_PAD src0_sel:DWORD src1_sel:WORD_1
	v_lshlrev_b32_sdwa v9, v11, v9 dst_sel:DWORD dst_unused:UNUSED_PAD src0_sel:DWORD src1_sel:WORD_0
	v_lshlrev_b32_e32 v10, 2, v10
	ds_write_b32 v9, v1 offset:24
	ds_write_b32 v10, v1 offset:96
	s_or_b64 exec, exec, s[8:9]
	v_cmp_ne_u16_sdwa s[10:11], v8, v8 src0_sel:DWORD src1_sel:WORD_1
	s_and_saveexec_b64 s[8:9], s[10:11]
	s_cbranch_execz .LBB4_39
.LBB4_85:
	s_mov_b32 s7, 0xffff
	v_and_b32_sdwa v10, s7, v8 dst_sel:DWORD dst_unused:UNUSED_PAD src0_sel:DWORD src1_sel:WORD_1
	v_or_b32_e32 v1, 13, v29
	v_mov_b32_e32 v9, 2
	v_lshlrev_b32_e32 v10, 2, v10
	v_lshlrev_b32_sdwa v9, v9, v8 dst_sel:DWORD dst_unused:UNUSED_PAD src0_sel:DWORD src1_sel:WORD_0
	ds_write_b32 v10, v1 offset:24
	ds_write_b32 v9, v1 offset:96
	s_or_b64 exec, exec, s[8:9]
	v_cmp_ne_u16_sdwa s[10:11], v7, v8 src0_sel:WORD_1 src1_sel:DWORD
	s_and_saveexec_b64 s[8:9], s[10:11]
	s_cbranch_execz .LBB4_40
.LBB4_86:
	s_mov_b32 s7, 0xffff
	v_mov_b32_e32 v10, 2
	v_or_b32_e32 v1, 12, v29
	v_and_b32_sdwa v9, s7, v7 dst_sel:DWORD dst_unused:UNUSED_PAD src0_sel:DWORD src1_sel:WORD_1
	v_lshlrev_b32_sdwa v8, v10, v8 dst_sel:DWORD dst_unused:UNUSED_PAD src0_sel:DWORD src1_sel:WORD_0
	v_lshlrev_b32_e32 v9, 2, v9
	ds_write_b32 v8, v1 offset:24
	ds_write_b32 v9, v1 offset:96
	s_or_b64 exec, exec, s[8:9]
	v_cmp_ne_u16_sdwa s[10:11], v7, v7 src0_sel:DWORD src1_sel:WORD_1
	s_and_saveexec_b64 s[8:9], s[10:11]
	s_cbranch_execz .LBB4_41
.LBB4_87:
	s_mov_b32 s7, 0xffff
	v_and_b32_sdwa v9, s7, v7 dst_sel:DWORD dst_unused:UNUSED_PAD src0_sel:DWORD src1_sel:WORD_1
	v_or_b32_e32 v1, 11, v29
	v_mov_b32_e32 v8, 2
	v_lshlrev_b32_e32 v9, 2, v9
	v_lshlrev_b32_sdwa v8, v8, v7 dst_sel:DWORD dst_unused:UNUSED_PAD src0_sel:DWORD src1_sel:WORD_0
	ds_write_b32 v9, v1 offset:24
	ds_write_b32 v8, v1 offset:96
	s_or_b64 exec, exec, s[8:9]
	v_cmp_ne_u16_sdwa s[10:11], v6, v7 src0_sel:WORD_1 src1_sel:DWORD
	s_and_saveexec_b64 s[8:9], s[10:11]
	s_cbranch_execz .LBB4_42
.LBB4_88:
	s_mov_b32 s7, 0xffff
	v_mov_b32_e32 v9, 2
	v_or_b32_e32 v1, 10, v29
	v_and_b32_sdwa v8, s7, v6 dst_sel:DWORD dst_unused:UNUSED_PAD src0_sel:DWORD src1_sel:WORD_1
	v_lshlrev_b32_sdwa v7, v9, v7 dst_sel:DWORD dst_unused:UNUSED_PAD src0_sel:DWORD src1_sel:WORD_0
	v_lshlrev_b32_e32 v8, 2, v8
	ds_write_b32 v7, v1 offset:24
	ds_write_b32 v8, v1 offset:96
	s_or_b64 exec, exec, s[8:9]
	v_cmp_ne_u16_sdwa s[10:11], v6, v6 src0_sel:DWORD src1_sel:WORD_1
	s_and_saveexec_b64 s[8:9], s[10:11]
	s_cbranch_execz .LBB4_43
.LBB4_89:
	s_mov_b32 s7, 0xffff
	v_and_b32_sdwa v8, s7, v6 dst_sel:DWORD dst_unused:UNUSED_PAD src0_sel:DWORD src1_sel:WORD_1
	v_or_b32_e32 v1, 9, v29
	v_mov_b32_e32 v7, 2
	v_lshlrev_b32_e32 v8, 2, v8
	v_lshlrev_b32_sdwa v7, v7, v6 dst_sel:DWORD dst_unused:UNUSED_PAD src0_sel:DWORD src1_sel:WORD_0
	ds_write_b32 v8, v1 offset:24
	ds_write_b32 v7, v1 offset:96
	s_or_b64 exec, exec, s[8:9]
	v_cmp_ne_u16_sdwa s[10:11], v5, v6 src0_sel:WORD_1 src1_sel:DWORD
	s_and_saveexec_b64 s[8:9], s[10:11]
	s_cbranch_execz .LBB4_44
.LBB4_90:
	s_mov_b32 s7, 0xffff
	v_mov_b32_e32 v8, 2
	v_or_b32_e32 v1, 8, v29
	v_and_b32_sdwa v7, s7, v5 dst_sel:DWORD dst_unused:UNUSED_PAD src0_sel:DWORD src1_sel:WORD_1
	v_lshlrev_b32_sdwa v6, v8, v6 dst_sel:DWORD dst_unused:UNUSED_PAD src0_sel:DWORD src1_sel:WORD_0
	v_lshlrev_b32_e32 v7, 2, v7
	ds_write_b32 v6, v1 offset:24
	ds_write_b32 v7, v1 offset:96
	s_or_b64 exec, exec, s[8:9]
	v_cmp_ne_u16_sdwa s[10:11], v5, v5 src0_sel:DWORD src1_sel:WORD_1
	s_and_saveexec_b64 s[8:9], s[10:11]
	s_cbranch_execz .LBB4_45
.LBB4_91:
	s_mov_b32 s7, 0xffff
	v_and_b32_sdwa v7, s7, v5 dst_sel:DWORD dst_unused:UNUSED_PAD src0_sel:DWORD src1_sel:WORD_1
	v_or_b32_e32 v1, 7, v29
	v_mov_b32_e32 v6, 2
	v_lshlrev_b32_e32 v7, 2, v7
	v_lshlrev_b32_sdwa v6, v6, v5 dst_sel:DWORD dst_unused:UNUSED_PAD src0_sel:DWORD src1_sel:WORD_0
	ds_write_b32 v7, v1 offset:24
	ds_write_b32 v6, v1 offset:96
	s_or_b64 exec, exec, s[8:9]
	v_cmp_ne_u16_sdwa s[10:11], v4, v5 src0_sel:WORD_1 src1_sel:DWORD
	s_and_saveexec_b64 s[8:9], s[10:11]
	s_cbranch_execz .LBB4_46
.LBB4_92:
	s_mov_b32 s7, 0xffff
	v_mov_b32_e32 v7, 2
	v_or_b32_e32 v1, 6, v29
	v_and_b32_sdwa v6, s7, v4 dst_sel:DWORD dst_unused:UNUSED_PAD src0_sel:DWORD src1_sel:WORD_1
	v_lshlrev_b32_sdwa v5, v7, v5 dst_sel:DWORD dst_unused:UNUSED_PAD src0_sel:DWORD src1_sel:WORD_0
	v_lshlrev_b32_e32 v6, 2, v6
	ds_write_b32 v5, v1 offset:24
	ds_write_b32 v6, v1 offset:96
	s_or_b64 exec, exec, s[8:9]
	v_cmp_ne_u16_sdwa s[10:11], v4, v4 src0_sel:DWORD src1_sel:WORD_1
	s_and_saveexec_b64 s[8:9], s[10:11]
	s_cbranch_execz .LBB4_47
.LBB4_93:
	s_mov_b32 s7, 0xffff
	v_and_b32_sdwa v6, s7, v4 dst_sel:DWORD dst_unused:UNUSED_PAD src0_sel:DWORD src1_sel:WORD_1
	v_or_b32_e32 v1, 5, v29
	v_mov_b32_e32 v5, 2
	v_lshlrev_b32_e32 v6, 2, v6
	v_lshlrev_b32_sdwa v5, v5, v4 dst_sel:DWORD dst_unused:UNUSED_PAD src0_sel:DWORD src1_sel:WORD_0
	ds_write_b32 v6, v1 offset:24
	ds_write_b32 v5, v1 offset:96
	s_or_b64 exec, exec, s[8:9]
	v_cmp_ne_u16_sdwa s[10:11], v3, v4 src0_sel:WORD_1 src1_sel:DWORD
	s_and_saveexec_b64 s[8:9], s[10:11]
	s_cbranch_execz .LBB4_48
.LBB4_94:
	s_mov_b32 s7, 0xffff
	v_mov_b32_e32 v6, 2
	v_or_b32_e32 v1, 4, v29
	v_and_b32_sdwa v5, s7, v3 dst_sel:DWORD dst_unused:UNUSED_PAD src0_sel:DWORD src1_sel:WORD_1
	v_lshlrev_b32_sdwa v4, v6, v4 dst_sel:DWORD dst_unused:UNUSED_PAD src0_sel:DWORD src1_sel:WORD_0
	v_lshlrev_b32_e32 v5, 2, v5
	ds_write_b32 v4, v1 offset:24
	ds_write_b32 v5, v1 offset:96
	s_or_b64 exec, exec, s[8:9]
	v_cmp_ne_u16_sdwa s[10:11], v3, v3 src0_sel:DWORD src1_sel:WORD_1
	s_and_saveexec_b64 s[8:9], s[10:11]
	s_cbranch_execz .LBB4_49
.LBB4_95:
	s_mov_b32 s7, 0xffff
	v_and_b32_sdwa v5, s7, v3 dst_sel:DWORD dst_unused:UNUSED_PAD src0_sel:DWORD src1_sel:WORD_1
	v_or_b32_e32 v1, 3, v29
	v_mov_b32_e32 v4, 2
	v_lshlrev_b32_e32 v5, 2, v5
	v_lshlrev_b32_sdwa v4, v4, v3 dst_sel:DWORD dst_unused:UNUSED_PAD src0_sel:DWORD src1_sel:WORD_0
	ds_write_b32 v5, v1 offset:24
	ds_write_b32 v4, v1 offset:96
	s_or_b64 exec, exec, s[8:9]
	v_cmp_ne_u16_sdwa s[10:11], v2, v3 src0_sel:WORD_1 src1_sel:DWORD
	s_and_saveexec_b64 s[8:9], s[10:11]
	s_cbranch_execz .LBB4_50
.LBB4_96:
	s_mov_b32 s7, 0xffff
	v_mov_b32_e32 v5, 2
	v_or_b32_e32 v1, 2, v29
	v_and_b32_sdwa v4, s7, v2 dst_sel:DWORD dst_unused:UNUSED_PAD src0_sel:DWORD src1_sel:WORD_1
	v_lshlrev_b32_sdwa v3, v5, v3 dst_sel:DWORD dst_unused:UNUSED_PAD src0_sel:DWORD src1_sel:WORD_0
	v_lshlrev_b32_e32 v4, 2, v4
	ds_write_b32 v3, v1 offset:24
	ds_write_b32 v4, v1 offset:96
	s_or_b64 exec, exec, s[8:9]
	v_cmp_ne_u16_sdwa s[10:11], v2, v2 src0_sel:DWORD src1_sel:WORD_1
	s_and_saveexec_b64 s[8:9], s[10:11]
	s_cbranch_execnz .LBB4_51
	s_branch .LBB4_52
.LBB4_97:
	ds_read2_b32 v[2:3], v1 offset0:6 offset1:24
	ds_read_u16 v4, v28 offset:384
	s_waitcnt lgkmcnt(1)
	v_sub_u32_e32 v2, v3, v2
	s_waitcnt lgkmcnt(0)
	v_add_u16_e32 v2, v4, v2
	ds_write_b16 v28, v2 offset:384
	s_or_b64 exec, exec, s[8:9]
	s_and_saveexec_b64 s[8:9], s[2:3]
	s_cbranch_execz .LBB4_59
.LBB4_98:
	ds_read2_b32 v[2:3], v1 offset0:12 offset1:30
	ds_read_u16 v4, v28 offset:396
	s_waitcnt lgkmcnt(1)
	v_sub_u32_e32 v2, v3, v2
	s_waitcnt lgkmcnt(0)
	v_add_u16_e32 v2, v4, v2
	ds_write_b16 v28, v2 offset:396
	s_or_b64 exec, exec, s[8:9]
	s_and_saveexec_b64 s[8:9], s[0:1]
	s_cbranch_execnz .LBB4_60
	s_branch .LBB4_61
.LBB4_99:
	ds_read_u16 v4, v28 offset:384
	v_add_u32_e32 v2, s8, v0
	v_mov_b32_e32 v3, 0
	v_lshlrev_b64 v[2:3], 1, v[2:3]
	s_add_i32 s4, s8, 6
	v_mov_b32_e32 v1, s23
	v_add_co_u32_e32 v2, vcc, s22, v2
	v_addc_co_u32_e32 v3, vcc, v1, v3, vcc
	v_mov_b32_e32 v1, s4
	s_waitcnt lgkmcnt(0)
	global_store_short v[2:3], v4, off
	s_or_b64 exec, exec, s[6:7]
	s_and_saveexec_b64 s[4:5], s[2:3]
	s_cbranch_execz .LBB4_63
.LBB4_100:
	ds_read_u16 v5, v28 offset:396
	v_add_u32_e32 v2, v1, v0
	v_mov_b32_e32 v3, 0
	v_lshlrev_b64 v[2:3], 1, v[2:3]
	v_add_u32_e32 v4, 6, v1
	v_mov_b32_e32 v1, s23
	v_add_co_u32_e32 v2, vcc, s22, v2
	v_addc_co_u32_e32 v3, vcc, v1, v3, vcc
	v_mov_b32_e32 v1, v4
	s_waitcnt lgkmcnt(0)
	global_store_short v[2:3], v5, off
	s_or_b64 exec, exec, s[4:5]
	s_and_saveexec_b64 s[2:3], s[0:1]
	s_cbranch_execz .LBB4_64
.LBB4_101:
	ds_read_u16 v3, v28 offset:408
	v_add_u32_e32 v0, v1, v0
	v_mov_b32_e32 v1, 0
	v_lshlrev_b64 v[0:1], 1, v[0:1]
	v_mov_b32_e32 v2, s23
	v_add_co_u32_e32 v0, vcc, s22, v0
	v_addc_co_u32_e32 v1, vcc, v2, v1, vcc
	s_waitcnt lgkmcnt(0)
	global_store_short v[0:1], v3, off
	s_endpgm
	.section	.rodata,"a",@progbits
	.p2align	6, 0x0
	.amdhsa_kernel _Z16histogram_kernelILj6ELj32ELj18ELN6hipcub23BlockHistogramAlgorithmE1EtEvPT3_S3_
		.amdhsa_group_segment_fixed_size 420
		.amdhsa_private_segment_fixed_size 0
		.amdhsa_kernarg_size 16
		.amdhsa_user_sgpr_count 6
		.amdhsa_user_sgpr_private_segment_buffer 1
		.amdhsa_user_sgpr_dispatch_ptr 0
		.amdhsa_user_sgpr_queue_ptr 0
		.amdhsa_user_sgpr_kernarg_segment_ptr 1
		.amdhsa_user_sgpr_dispatch_id 0
		.amdhsa_user_sgpr_flat_scratch_init 0
		.amdhsa_user_sgpr_kernarg_preload_length 0
		.amdhsa_user_sgpr_kernarg_preload_offset 0
		.amdhsa_user_sgpr_private_segment_size 0
		.amdhsa_uses_dynamic_stack 0
		.amdhsa_system_sgpr_private_segment_wavefront_offset 0
		.amdhsa_system_sgpr_workgroup_id_x 1
		.amdhsa_system_sgpr_workgroup_id_y 0
		.amdhsa_system_sgpr_workgroup_id_z 0
		.amdhsa_system_sgpr_workgroup_info 0
		.amdhsa_system_vgpr_workitem_id 0
		.amdhsa_next_free_vgpr 131
		.amdhsa_next_free_sgpr 31
		.amdhsa_accum_offset 132
		.amdhsa_reserve_vcc 1
		.amdhsa_reserve_flat_scratch 0
		.amdhsa_float_round_mode_32 0
		.amdhsa_float_round_mode_16_64 0
		.amdhsa_float_denorm_mode_32 3
		.amdhsa_float_denorm_mode_16_64 3
		.amdhsa_dx10_clamp 1
		.amdhsa_ieee_mode 1
		.amdhsa_fp16_overflow 0
		.amdhsa_tg_split 0
		.amdhsa_exception_fp_ieee_invalid_op 0
		.amdhsa_exception_fp_denorm_src 0
		.amdhsa_exception_fp_ieee_div_zero 0
		.amdhsa_exception_fp_ieee_overflow 0
		.amdhsa_exception_fp_ieee_underflow 0
		.amdhsa_exception_fp_ieee_inexact 0
		.amdhsa_exception_int_div_zero 0
	.end_amdhsa_kernel
	.section	.text._Z16histogram_kernelILj6ELj32ELj18ELN6hipcub23BlockHistogramAlgorithmE1EtEvPT3_S3_,"axG",@progbits,_Z16histogram_kernelILj6ELj32ELj18ELN6hipcub23BlockHistogramAlgorithmE1EtEvPT3_S3_,comdat
.Lfunc_end4:
	.size	_Z16histogram_kernelILj6ELj32ELj18ELN6hipcub23BlockHistogramAlgorithmE1EtEvPT3_S3_, .Lfunc_end4-_Z16histogram_kernelILj6ELj32ELj18ELN6hipcub23BlockHistogramAlgorithmE1EtEvPT3_S3_
                                        ; -- End function
	.section	.AMDGPU.csdata,"",@progbits
; Kernel info:
; codeLenInByte = 8016
; NumSgprs: 35
; NumVgprs: 131
; NumAgprs: 0
; TotalNumVgprs: 131
; ScratchSize: 0
; MemoryBound: 0
; FloatMode: 240
; IeeeMode: 1
; LDSByteSize: 420 bytes/workgroup (compile time only)
; SGPRBlocks: 4
; VGPRBlocks: 16
; NumSGPRsForWavesPerEU: 35
; NumVGPRsForWavesPerEU: 131
; AccumOffset: 132
; Occupancy: 3
; WaveLimiterHint : 0
; COMPUTE_PGM_RSRC2:SCRATCH_EN: 0
; COMPUTE_PGM_RSRC2:USER_SGPR: 6
; COMPUTE_PGM_RSRC2:TRAP_HANDLER: 0
; COMPUTE_PGM_RSRC2:TGID_X_EN: 1
; COMPUTE_PGM_RSRC2:TGID_Y_EN: 0
; COMPUTE_PGM_RSRC2:TGID_Z_EN: 0
; COMPUTE_PGM_RSRC2:TIDIG_COMP_CNT: 0
; COMPUTE_PGM_RSRC3_GFX90A:ACCUM_OFFSET: 32
; COMPUTE_PGM_RSRC3_GFX90A:TG_SPLIT: 0
	.section	.text._Z16histogram_kernelILj1024ELj1ELj1024ELN6hipcub23BlockHistogramAlgorithmE1EhEvPT3_S3_,"axG",@progbits,_Z16histogram_kernelILj1024ELj1ELj1024ELN6hipcub23BlockHistogramAlgorithmE1EhEvPT3_S3_,comdat
	.protected	_Z16histogram_kernelILj1024ELj1ELj1024ELN6hipcub23BlockHistogramAlgorithmE1EhEvPT3_S3_ ; -- Begin function _Z16histogram_kernelILj1024ELj1ELj1024ELN6hipcub23BlockHistogramAlgorithmE1EhEvPT3_S3_
	.globl	_Z16histogram_kernelILj1024ELj1ELj1024ELN6hipcub23BlockHistogramAlgorithmE1EhEvPT3_S3_
	.p2align	8
	.type	_Z16histogram_kernelILj1024ELj1ELj1024ELN6hipcub23BlockHistogramAlgorithmE1EhEvPT3_S3_,@function
_Z16histogram_kernelILj1024ELj1ELj1024ELN6hipcub23BlockHistogramAlgorithmE1EhEvPT3_S3_: ; @_Z16histogram_kernelILj1024ELj1ELj1024ELN6hipcub23BlockHistogramAlgorithmE1EhEvPT3_S3_
; %bb.0:
	s_load_dwordx4 s[8:11], s[4:5], 0x0
	s_load_dword s0, s[4:5], 0x1c
	v_and_b32_e32 v2, 0x3ff, v0
	v_lshl_or_b32 v3, s6, 10, v2
	v_bfe_u32 v1, v0, 10, 10
	s_waitcnt lgkmcnt(0)
	global_load_ubyte v6, v3, s[8:9]
	v_bfe_u32 v0, v0, 20, 10
	s_lshr_b32 s1, s0, 16
	s_and_b32 s0, s0, 0xffff
	v_mad_u32_u24 v0, v0, s1, v1
	v_mov_b32_e32 v5, 4
	v_mad_u64_u32 v[0:1], s[0:1], v0, s0, v[2:3]
	v_lshrrev_b32_e32 v0, 6, v0
	v_mov_b32_e32 v4, 0
	v_lshlrev_b32_e32 v7, 4, v2
	ds_write_b8 v2, v4 offset:16448
	s_waitcnt lgkmcnt(0)
	s_barrier
	ds_write2_b32 v7, v4, v4 offset0:16 offset1:17
	ds_write2_b32 v7, v4, v4 offset0:18 offset1:19
	v_add_u32_e32 v8, 64, v7
	s_waitcnt lgkmcnt(0)
	s_barrier
	s_waitcnt lgkmcnt(0)
	; wave barrier
	s_waitcnt vmcnt(0)
	v_lshlrev_b32_sdwa v1, v5, v6 dst_sel:DWORD dst_unused:UNUSED_PAD src0_sel:DWORD src1_sel:BYTE_0
	v_and_b32_e32 v10, 1, v6
	v_add_lshl_u32 v9, v0, v1, 2
	v_add_co_u32_e32 v0, vcc, -1, v10
	v_lshlrev_b32_e32 v5, 30, v6
	v_addc_co_u32_e64 v1, s[0:1], 0, -1, vcc
	v_cmp_ne_u32_e32 vcc, 0, v10
	v_cmp_gt_i64_e64 s[0:1], 0, v[4:5]
	v_not_b32_e32 v10, v5
	v_lshlrev_b32_e32 v5, 29, v6
	v_xor_b32_e32 v1, vcc_hi, v1
	v_xor_b32_e32 v0, vcc_lo, v0
	v_ashrrev_i32_e32 v10, 31, v10
	v_cmp_gt_i64_e32 vcc, 0, v[4:5]
	v_not_b32_e32 v11, v5
	v_lshlrev_b32_e32 v5, 28, v6
	v_and_b32_e32 v1, exec_hi, v1
	v_and_b32_e32 v0, exec_lo, v0
	v_xor_b32_e32 v12, s1, v10
	v_xor_b32_e32 v10, s0, v10
	v_ashrrev_i32_e32 v11, 31, v11
	v_cmp_gt_i64_e64 s[0:1], 0, v[4:5]
	v_not_b32_e32 v13, v5
	v_lshlrev_b32_e32 v5, 27, v6
	v_and_b32_e32 v1, v1, v12
	v_and_b32_e32 v0, v0, v10
	v_xor_b32_e32 v10, vcc_hi, v11
	v_xor_b32_e32 v11, vcc_lo, v11
	v_ashrrev_i32_e32 v12, 31, v13
	v_cmp_gt_i64_e32 vcc, 0, v[4:5]
	v_not_b32_e32 v13, v5
	v_lshlrev_b32_e32 v5, 26, v6
	v_and_b32_e32 v1, v1, v10
	v_and_b32_e32 v0, v0, v11
	v_xor_b32_e32 v10, s1, v12
	v_xor_b32_e32 v11, s0, v12
	v_ashrrev_i32_e32 v12, 31, v13
	v_cmp_gt_i64_e64 s[0:1], 0, v[4:5]
	v_not_b32_e32 v13, v5
	v_lshlrev_b32_e32 v5, 25, v6
	v_and_b32_e32 v1, v1, v10
	v_and_b32_e32 v0, v0, v11
	v_xor_b32_e32 v10, vcc_hi, v12
	v_xor_b32_e32 v11, vcc_lo, v12
	v_ashrrev_i32_e32 v12, 31, v13
	v_cmp_gt_i64_e32 vcc, 0, v[4:5]
	v_not_b32_e32 v13, v5
	v_lshlrev_b32_e32 v5, 24, v6
	v_and_b32_e32 v1, v1, v10
	v_and_b32_e32 v0, v0, v11
	v_xor_b32_e32 v10, s1, v12
	v_xor_b32_e32 v11, s0, v12
	v_ashrrev_i32_e32 v12, 31, v13
	v_cmp_gt_i64_e64 s[0:1], 0, v[4:5]
	v_not_b32_e32 v4, v5
	v_and_b32_e32 v1, v1, v10
	v_and_b32_e32 v0, v0, v11
	v_xor_b32_e32 v5, vcc_hi, v12
	v_xor_b32_e32 v10, vcc_lo, v12
	v_ashrrev_i32_e32 v4, 31, v4
	v_and_b32_e32 v1, v1, v5
	v_and_b32_e32 v0, v0, v10
	v_xor_b32_e32 v5, s1, v4
	v_xor_b32_e32 v4, s0, v4
	v_and_b32_e32 v0, v0, v4
	v_and_b32_e32 v1, v1, v5
	v_mbcnt_lo_u32_b32 v4, v0, 0
	v_mbcnt_hi_u32_b32 v10, v1, v4
	v_cmp_eq_u32_e32 vcc, 0, v10
	v_cmp_ne_u64_e64 s[0:1], 0, v[0:1]
	s_and_b64 s[2:3], s[0:1], vcc
	s_and_saveexec_b64 s[0:1], s[2:3]
	s_cbranch_execz .LBB5_2
; %bb.1:
	v_bcnt_u32_b32 v0, v0, 0
	v_bcnt_u32_b32 v0, v1, v0
	ds_write_b32 v9, v0 offset:64
.LBB5_2:
	s_or_b64 exec, exec, s[0:1]
	; wave barrier
	s_waitcnt lgkmcnt(0)
	s_barrier
	ds_read2_b32 v[0:1], v7 offset0:16 offset1:17
	ds_read2_b32 v[4:5], v8 offset0:2 offset1:3
	s_waitcnt lgkmcnt(1)
	v_add_u32_e32 v11, v1, v0
	s_waitcnt lgkmcnt(0)
	v_add3_u32 v5, v11, v4, v5
	v_mbcnt_lo_u32_b32 v11, -1, 0
	v_mbcnt_hi_u32_b32 v11, -1, v11
	v_and_b32_e32 v12, 15, v11
	v_mov_b32_dpp v13, v5 row_shr:1 row_mask:0xf bank_mask:0xf
	v_cmp_eq_u32_e32 vcc, 0, v12
	v_cndmask_b32_e64 v13, v13, 0, vcc
	v_add_u32_e32 v5, v13, v5
	v_cmp_lt_u32_e64 s[0:1], 1, v12
	v_cmp_lt_u32_e64 s[2:3], 3, v12
	v_mov_b32_dpp v13, v5 row_shr:2 row_mask:0xf bank_mask:0xf
	v_cndmask_b32_e64 v13, 0, v13, s[0:1]
	v_add_u32_e32 v5, v5, v13
	v_cmp_lt_u32_e64 s[4:5], 7, v12
	v_cmp_lt_u32_e64 s[6:7], 31, v11
	v_mov_b32_dpp v13, v5 row_shr:4 row_mask:0xf bank_mask:0xf
	v_cndmask_b32_e64 v13, 0, v13, s[2:3]
	v_add_u32_e32 v5, v5, v13
	s_nop 1
	v_mov_b32_dpp v13, v5 row_shr:8 row_mask:0xf bank_mask:0xf
	v_cndmask_b32_e64 v12, 0, v13, s[4:5]
	v_add_u32_e32 v5, v5, v12
	v_bfe_i32 v13, v11, 4, 1
	s_nop 0
	v_mov_b32_dpp v12, v5 row_bcast:15 row_mask:0xf bank_mask:0xf
	v_and_b32_e32 v12, v13, v12
	v_add_u32_e32 v5, v5, v12
	v_lshrrev_b32_e32 v13, 6, v2
	s_nop 0
	v_mov_b32_dpp v12, v5 row_bcast:31 row_mask:0xf bank_mask:0xf
	v_cndmask_b32_e64 v12, 0, v12, s[6:7]
	v_add_u32_e32 v12, v5, v12
	v_and_b32_e32 v5, 63, v2
	v_cmp_eq_u32_e64 s[6:7], 63, v5
	s_and_saveexec_b64 s[8:9], s[6:7]
	s_cbranch_execz .LBB5_4
; %bb.3:
	v_lshlrev_b32_e32 v5, 2, v13
	ds_write_b32 v5, v12
.LBB5_4:
	s_or_b64 exec, exec, s[8:9]
	v_cmp_gt_u32_e64 s[6:7], 16, v2
	v_lshlrev_b32_e32 v5, 2, v2
	s_waitcnt lgkmcnt(0)
	s_barrier
	s_and_saveexec_b64 s[8:9], s[6:7]
	s_cbranch_execz .LBB5_6
; %bb.5:
	ds_read_b32 v14, v5
	s_waitcnt lgkmcnt(0)
	s_nop 0
	v_mov_b32_dpp v15, v14 row_shr:1 row_mask:0xf bank_mask:0xf
	v_cndmask_b32_e64 v15, v15, 0, vcc
	v_add_u32_e32 v14, v15, v14
	s_nop 1
	v_mov_b32_dpp v15, v14 row_shr:2 row_mask:0xf bank_mask:0xf
	v_cndmask_b32_e64 v15, 0, v15, s[0:1]
	v_add_u32_e32 v14, v14, v15
	s_nop 1
	v_mov_b32_dpp v15, v14 row_shr:4 row_mask:0xf bank_mask:0xf
	v_cndmask_b32_e64 v15, 0, v15, s[2:3]
	;; [unrolled: 4-line block ×3, first 2 shown]
	v_add_u32_e32 v14, v14, v15
	ds_write_b32 v5, v14
.LBB5_6:
	s_or_b64 exec, exec, s[8:9]
	v_cmp_lt_u32_e32 vcc, 63, v2
	v_mov_b32_e32 v14, 0
	s_waitcnt lgkmcnt(0)
	s_barrier
	s_and_saveexec_b64 s[0:1], vcc
	s_cbranch_execz .LBB5_8
; %bb.7:
	v_lshl_add_u32 v13, v13, 2, -4
	ds_read_b32 v14, v13
.LBB5_8:
	s_or_b64 exec, exec, s[0:1]
	v_add_u32_e32 v13, -1, v11
	v_and_b32_e32 v15, 64, v11
	v_cmp_lt_i32_e32 vcc, v13, v15
	v_cndmask_b32_e32 v13, v13, v11, vcc
	s_waitcnt lgkmcnt(0)
	v_add_u32_e32 v12, v14, v12
	v_lshlrev_b32_e32 v13, 2, v13
	ds_bpermute_b32 v12, v13, v12
	v_cmp_eq_u32_e32 vcc, 0, v11
	v_cmp_ne_u32_e64 s[0:1], 0, v2
	s_waitcnt lgkmcnt(0)
	v_cndmask_b32_e32 v11, v12, v14, vcc
	v_cmp_eq_u32_e32 vcc, 0, v2
	v_cndmask_b32_e64 v11, v11, 0, vcc
	v_add_u32_e32 v0, v11, v0
	v_add_u32_e32 v1, v0, v1
	v_add_u32_e32 v4, v1, v4
	ds_write2_b32 v7, v11, v0 offset0:16 offset1:17
	ds_write2_b32 v8, v1, v4 offset0:2 offset1:3
	s_waitcnt lgkmcnt(0)
	s_barrier
	ds_read_b32 v0, v9 offset:64
	s_waitcnt lgkmcnt(0)
	s_barrier
	v_mov_b32_e32 v1, 0x400
	v_add_u32_e32 v0, v0, v10
	ds_write_b8 v0, v6
	s_waitcnt lgkmcnt(0)
	s_barrier
	ds_read_u8 v0, v2
	s_waitcnt lgkmcnt(0)
	s_barrier
	ds_write2st64_b32 v5, v1, v1 offset0:8 offset1:24
	s_waitcnt lgkmcnt(0)
	s_barrier
	ds_write_b8 v2, v0
	s_waitcnt lgkmcnt(0)
	s_barrier
	s_and_saveexec_b64 s[2:3], s[0:1]
	s_cbranch_execz .LBB5_11
; %bb.9:
	v_add_u32_e32 v1, -1, v2
	ds_read_u8 v1, v1
	s_waitcnt lgkmcnt(0)
	v_cmp_ne_u16_sdwa s[0:1], v1, v0 src0_sel:DWORD src1_sel:BYTE_0
	s_and_b64 exec, exec, s[0:1]
	s_cbranch_execz .LBB5_11
; %bb.10:
	v_mov_b32_e32 v4, 2
	v_lshlrev_b32_sdwa v6, v4, v0 dst_sel:DWORD dst_unused:UNUSED_PAD src0_sel:DWORD src1_sel:BYTE_0
	v_lshlrev_b32_sdwa v1, v4, v1 dst_sel:DWORD dst_unused:UNUSED_PAD src0_sel:DWORD src1_sel:WORD_0
	ds_write_b32 v6, v2 offset:2048
	ds_write_b32 v1, v2 offset:6144
.LBB5_11:
	s_or_b64 exec, exec, s[2:3]
	s_waitcnt lgkmcnt(0)
	s_barrier
	s_and_saveexec_b64 s[0:1], vcc
	s_cbranch_execz .LBB5_13
; %bb.12:
	v_mov_b32_e32 v1, 2
	v_lshlrev_b32_sdwa v0, v1, v0 dst_sel:DWORD dst_unused:UNUSED_PAD src0_sel:DWORD src1_sel:BYTE_0
	v_mov_b32_e32 v1, 0
	ds_write_b32 v0, v1 offset:2048
.LBB5_13:
	s_or_b64 exec, exec, s[0:1]
	s_waitcnt lgkmcnt(0)
	s_barrier
	ds_read2st64_b32 v[0:1], v5 offset0:8 offset1:24
	ds_read_u8 v4, v2 offset:16448
	s_waitcnt lgkmcnt(1)
	v_sub_u32_e32 v0, v1, v0
	s_waitcnt lgkmcnt(0)
	v_add_u16_e32 v0, v4, v0
	ds_write_b8 v2, v0 offset:16448
	s_waitcnt lgkmcnt(0)
	s_barrier
	ds_read_u8 v2, v2 offset:16448
	v_mov_b32_e32 v1, s11
	v_add_co_u32_e32 v0, vcc, s10, v3
	v_addc_co_u32_e32 v1, vcc, 0, v1, vcc
	s_waitcnt lgkmcnt(0)
	global_store_byte v[0:1], v2, off
	s_endpgm
	.section	.rodata,"a",@progbits
	.p2align	6, 0x0
	.amdhsa_kernel _Z16histogram_kernelILj1024ELj1ELj1024ELN6hipcub23BlockHistogramAlgorithmE1EhEvPT3_S3_
		.amdhsa_group_segment_fixed_size 17472
		.amdhsa_private_segment_fixed_size 0
		.amdhsa_kernarg_size 272
		.amdhsa_user_sgpr_count 6
		.amdhsa_user_sgpr_private_segment_buffer 1
		.amdhsa_user_sgpr_dispatch_ptr 0
		.amdhsa_user_sgpr_queue_ptr 0
		.amdhsa_user_sgpr_kernarg_segment_ptr 1
		.amdhsa_user_sgpr_dispatch_id 0
		.amdhsa_user_sgpr_flat_scratch_init 0
		.amdhsa_user_sgpr_kernarg_preload_length 0
		.amdhsa_user_sgpr_kernarg_preload_offset 0
		.amdhsa_user_sgpr_private_segment_size 0
		.amdhsa_uses_dynamic_stack 0
		.amdhsa_system_sgpr_private_segment_wavefront_offset 0
		.amdhsa_system_sgpr_workgroup_id_x 1
		.amdhsa_system_sgpr_workgroup_id_y 0
		.amdhsa_system_sgpr_workgroup_id_z 0
		.amdhsa_system_sgpr_workgroup_info 0
		.amdhsa_system_vgpr_workitem_id 2
		.amdhsa_next_free_vgpr 16
		.amdhsa_next_free_sgpr 12
		.amdhsa_accum_offset 16
		.amdhsa_reserve_vcc 1
		.amdhsa_reserve_flat_scratch 0
		.amdhsa_float_round_mode_32 0
		.amdhsa_float_round_mode_16_64 0
		.amdhsa_float_denorm_mode_32 3
		.amdhsa_float_denorm_mode_16_64 3
		.amdhsa_dx10_clamp 1
		.amdhsa_ieee_mode 1
		.amdhsa_fp16_overflow 0
		.amdhsa_tg_split 0
		.amdhsa_exception_fp_ieee_invalid_op 0
		.amdhsa_exception_fp_denorm_src 0
		.amdhsa_exception_fp_ieee_div_zero 0
		.amdhsa_exception_fp_ieee_overflow 0
		.amdhsa_exception_fp_ieee_underflow 0
		.amdhsa_exception_fp_ieee_inexact 0
		.amdhsa_exception_int_div_zero 0
	.end_amdhsa_kernel
	.section	.text._Z16histogram_kernelILj1024ELj1ELj1024ELN6hipcub23BlockHistogramAlgorithmE1EhEvPT3_S3_,"axG",@progbits,_Z16histogram_kernelILj1024ELj1ELj1024ELN6hipcub23BlockHistogramAlgorithmE1EhEvPT3_S3_,comdat
.Lfunc_end5:
	.size	_Z16histogram_kernelILj1024ELj1ELj1024ELN6hipcub23BlockHistogramAlgorithmE1EhEvPT3_S3_, .Lfunc_end5-_Z16histogram_kernelILj1024ELj1ELj1024ELN6hipcub23BlockHistogramAlgorithmE1EhEvPT3_S3_
                                        ; -- End function
	.section	.AMDGPU.csdata,"",@progbits
; Kernel info:
; codeLenInByte = 1396
; NumSgprs: 16
; NumVgprs: 16
; NumAgprs: 0
; TotalNumVgprs: 16
; ScratchSize: 0
; MemoryBound: 0
; FloatMode: 240
; IeeeMode: 1
; LDSByteSize: 17472 bytes/workgroup (compile time only)
; SGPRBlocks: 1
; VGPRBlocks: 1
; NumSGPRsForWavesPerEU: 16
; NumVGPRsForWavesPerEU: 16
; AccumOffset: 16
; Occupancy: 8
; WaveLimiterHint : 0
; COMPUTE_PGM_RSRC2:SCRATCH_EN: 0
; COMPUTE_PGM_RSRC2:USER_SGPR: 6
; COMPUTE_PGM_RSRC2:TRAP_HANDLER: 0
; COMPUTE_PGM_RSRC2:TGID_X_EN: 1
; COMPUTE_PGM_RSRC2:TGID_Y_EN: 0
; COMPUTE_PGM_RSRC2:TGID_Z_EN: 0
; COMPUTE_PGM_RSRC2:TIDIG_COMP_CNT: 2
; COMPUTE_PGM_RSRC3_GFX90A:ACCUM_OFFSET: 3
; COMPUTE_PGM_RSRC3_GFX90A:TG_SPLIT: 0
	.section	.text._Z16histogram_kernelILj512ELj4ELj512ELN6hipcub23BlockHistogramAlgorithmE1EhEvPT3_S3_,"axG",@progbits,_Z16histogram_kernelILj512ELj4ELj512ELN6hipcub23BlockHistogramAlgorithmE1EhEvPT3_S3_,comdat
	.protected	_Z16histogram_kernelILj512ELj4ELj512ELN6hipcub23BlockHistogramAlgorithmE1EhEvPT3_S3_ ; -- Begin function _Z16histogram_kernelILj512ELj4ELj512ELN6hipcub23BlockHistogramAlgorithmE1EhEvPT3_S3_
	.globl	_Z16histogram_kernelILj512ELj4ELj512ELN6hipcub23BlockHistogramAlgorithmE1EhEvPT3_S3_
	.p2align	8
	.type	_Z16histogram_kernelILj512ELj4ELj512ELN6hipcub23BlockHistogramAlgorithmE1EhEvPT3_S3_,@function
_Z16histogram_kernelILj512ELj4ELj512ELN6hipcub23BlockHistogramAlgorithmE1EhEvPT3_S3_: ; @_Z16histogram_kernelILj512ELj4ELj512ELN6hipcub23BlockHistogramAlgorithmE1EhEvPT3_S3_
; %bb.0:
	s_load_dwordx4 s[12:15], s[4:5], 0x0
	v_and_b32_e32 v2, 0x3ff, v0
	v_lshlrev_b32_e32 v3, 2, v2
	v_lshl_or_b32 v1, s6, 11, v3
	s_movk_i32 s0, 0x200
	s_waitcnt lgkmcnt(0)
	global_load_dword v1, v1, s[12:13]
	v_cmp_gt_u32_e32 vcc, s0, v2
	s_and_saveexec_b64 s[0:1], vcc
	s_cbranch_execz .LBB6_2
; %bb.1:
	v_mov_b32_e32 v4, 0
	ds_write_b8 v2, v4 offset:8224
.LBB6_2:
	s_or_b64 exec, exec, s[0:1]
	v_mbcnt_lo_u32_b32 v4, -1, 0
	v_mbcnt_hi_u32_b32 v6, -1, v4
	v_lshrrev_b32_e32 v10, 2, v6
	v_and_b32_e32 v7, 64, v6
	v_or_b32_e32 v4, v10, v7
	s_waitcnt vmcnt(0)
	v_and_b32_e32 v8, 0xff, v1
	v_bfe_u32 v9, v1, 8, 8
	v_lshlrev_b32_e32 v11, 2, v4
	ds_bpermute_b32 v12, v11, v8
	ds_bpermute_b32 v13, v11, v9
	v_lshrrev_b32_e32 v5, 24, v1
	v_bfe_u32 v1, v1, 16, 8
	v_and_b32_e32 v14, 3, v6
	s_mov_b32 s0, 0x3020104
	ds_bpermute_b32 v15, v11, v1
	s_waitcnt lgkmcnt(1)
	v_perm_b32 v13, v13, v12, s0
	v_cmp_eq_u32_e64 s[2:3], 1, v14
	v_cndmask_b32_e64 v12, v12, v13, s[2:3]
	ds_bpermute_b32 v13, v11, v5
	ds_bpermute_b32 v16, v11, v8 offset:64
	s_waitcnt lgkmcnt(2)
	v_perm_b32 v15, v15, v12, s0
	v_cmp_eq_u32_e64 s[8:9], 2, v14
	v_cndmask_b32_e64 v12, v12, v15, s[8:9]
	s_waitcnt lgkmcnt(1)
	v_perm_b32 v13, v13, v12, s0
	v_cmp_eq_u32_e64 s[0:1], 3, v14
	ds_bpermute_b32 v15, v11, v9 offset:64
	v_cndmask_b32_e64 v12, v12, v13, s[0:1]
	s_waitcnt lgkmcnt(1)
	v_lshlrev_b16_e32 v13, 8, v16
	v_or_b32_sdwa v13, v12, v13 dst_sel:DWORD dst_unused:UNUSED_PAD src0_sel:BYTE_0 src1_sel:DWORD
	v_and_b32_e32 v13, 0xffff, v13
	s_mov_b32 s13, 0xffff0000
	v_and_or_b32 v13, v12, s13, v13
	v_cmp_eq_u32_e64 s[10:11], 0, v14
	ds_bpermute_b32 v14, v11, v1 offset:64
	v_cndmask_b32_e64 v12, v12, v13, s[10:11]
	s_waitcnt lgkmcnt(1)
	v_lshlrev_b16_e32 v13, 8, v15
	v_or_b32_sdwa v13, v12, v13 dst_sel:DWORD dst_unused:UNUSED_PAD src0_sel:BYTE_0 src1_sel:DWORD
	v_and_b32_e32 v13, 0xffff, v13
	v_and_or_b32 v13, v12, s13, v13
	v_cndmask_b32_e64 v12, v12, v13, s[2:3]
	s_waitcnt lgkmcnt(0)
	v_lshlrev_b16_e32 v13, 8, v14
	ds_bpermute_b32 v14, v11, v5 offset:64
	v_or_b32_sdwa v13, v12, v13 dst_sel:DWORD dst_unused:UNUSED_PAD src0_sel:BYTE_0 src1_sel:DWORD
	v_and_b32_e32 v13, 0xffff, v13
	v_and_or_b32 v13, v12, s13, v13
	v_cndmask_b32_e64 v12, v12, v13, s[8:9]
	s_waitcnt lgkmcnt(0)
	v_lshlrev_b16_e32 v13, 8, v14
	v_or_b32_sdwa v13, v12, v13 dst_sel:DWORD dst_unused:UNUSED_PAD src0_sel:BYTE_0 src1_sel:DWORD
	ds_bpermute_b32 v14, v11, v8 offset:128
	v_and_b32_e32 v13, 0xffff, v13
	v_and_or_b32 v13, v12, s13, v13
	v_cndmask_b32_e64 v12, v12, v13, s[0:1]
	s_movk_i32 s13, 0xff00
	v_and_b32_sdwa v13, v12, s13 dst_sel:DWORD dst_unused:UNUSED_PAD src0_sel:WORD_1 src1_sel:DWORD
	s_waitcnt lgkmcnt(0)
	v_or_b32_sdwa v13, v14, v13 dst_sel:WORD_1 dst_unused:UNUSED_PAD src0_sel:BYTE_0 src1_sel:DWORD
	ds_bpermute_b32 v14, v11, v9 offset:128
	s_mov_b32 s12, 0xffff
	v_and_or_b32 v13, v12, s12, v13
	v_cndmask_b32_e64 v12, v12, v13, s[10:11]
	v_and_b32_sdwa v13, v12, s13 dst_sel:DWORD dst_unused:UNUSED_PAD src0_sel:WORD_1 src1_sel:DWORD
	ds_bpermute_b32 v15, v11, v1 offset:128
	s_waitcnt lgkmcnt(1)
	v_or_b32_sdwa v13, v14, v13 dst_sel:WORD_1 dst_unused:UNUSED_PAD src0_sel:BYTE_0 src1_sel:DWORD
	v_and_or_b32 v13, v12, s12, v13
	v_cndmask_b32_e64 v12, v12, v13, s[2:3]
	v_and_b32_sdwa v13, v12, s13 dst_sel:DWORD dst_unused:UNUSED_PAD src0_sel:WORD_1 src1_sel:DWORD
	ds_bpermute_b32 v11, v11, v5 offset:128
	v_add_u32_e32 v10, 48, v10
	s_waitcnt lgkmcnt(1)
	v_or_b32_sdwa v13, v15, v13 dst_sel:WORD_1 dst_unused:UNUSED_PAD src0_sel:BYTE_0 src1_sel:DWORD
	v_and_or_b32 v10, v10, 63, v7
	v_and_or_b32 v13, v12, s12, v13
	v_lshlrev_b32_e32 v10, 2, v10
	v_cndmask_b32_e64 v12, v12, v13, s[8:9]
	ds_bpermute_b32 v8, v10, v8
	v_and_b32_sdwa v13, v12, s13 dst_sel:DWORD dst_unused:UNUSED_PAD src0_sel:WORD_1 src1_sel:DWORD
	s_waitcnt lgkmcnt(1)
	v_or_b32_sdwa v11, v11, v13 dst_sel:WORD_1 dst_unused:UNUSED_PAD src0_sel:BYTE_0 src1_sel:DWORD
	v_and_or_b32 v11, v12, s12, v11
	s_movk_i32 s7, 0xff
	v_cndmask_b32_e64 v11, v12, v11, s[0:1]
	ds_bpermute_b32 v9, v10, v9
	v_and_b32_sdwa v12, v11, s7 dst_sel:DWORD dst_unused:UNUSED_PAD src0_sel:WORD_1 src1_sel:DWORD
	s_waitcnt lgkmcnt(1)
	v_lshlrev_b16_e32 v8, 8, v8
	v_or_b32_sdwa v8, v12, v8 dst_sel:WORD_1 dst_unused:UNUSED_PAD src0_sel:DWORD src1_sel:DWORD
	v_and_or_b32 v8, v11, s12, v8
	v_cndmask_b32_e64 v8, v11, v8, s[10:11]
	ds_bpermute_b32 v1, v10, v1
	v_and_b32_sdwa v11, v8, s7 dst_sel:DWORD dst_unused:UNUSED_PAD src0_sel:WORD_1 src1_sel:DWORD
	s_waitcnt lgkmcnt(1)
	v_lshlrev_b16_e32 v9, 8, v9
	v_or_b32_sdwa v9, v11, v9 dst_sel:WORD_1 dst_unused:UNUSED_PAD src0_sel:DWORD src1_sel:DWORD
	v_and_or_b32 v9, v8, s12, v9
	v_cndmask_b32_e64 v8, v8, v9, s[2:3]
	ds_bpermute_b32 v5, v10, v5
	v_and_b32_sdwa v9, v8, s7 dst_sel:DWORD dst_unused:UNUSED_PAD src0_sel:WORD_1 src1_sel:DWORD
	s_waitcnt lgkmcnt(1)
	v_lshlrev_b16_e32 v1, 8, v1
	v_or_b32_sdwa v1, v9, v1 dst_sel:WORD_1 dst_unused:UNUSED_PAD src0_sel:DWORD src1_sel:DWORD
	s_waitcnt lgkmcnt(0)
	s_barrier
	v_and_or_b32 v1, v8, s12, v1
	s_barrier
	s_load_dword s2, s[4:5], 0x1c
	v_cndmask_b32_e64 v1, v8, v1, s[8:9]
	v_and_b32_sdwa v8, v1, s7 dst_sel:DWORD dst_unused:UNUSED_PAD src0_sel:WORD_1 src1_sel:DWORD
	v_lshlrev_b16_e32 v5, 8, v5
	v_or_b32_sdwa v5, v8, v5 dst_sel:WORD_1 dst_unused:UNUSED_PAD src0_sel:DWORD src1_sel:DWORD
	v_and_or_b32 v5, v1, s12, v5
	v_cndmask_b32_e64 v8, v1, v5, s[0:1]
	s_waitcnt lgkmcnt(0)
	s_lshr_b32 s0, s2, 16
	v_bfe_u32 v1, v0, 10, 10
	v_bfe_u32 v0, v0, 20, 10
	s_and_b32 s1, s2, 0xffff
	v_mad_u32_u24 v0, v0, s0, v1
	v_mad_u64_u32 v[0:1], s[0:1], v0, s1, v[2:3]
	v_mov_b32_e32 v13, 3
	v_lshrrev_b32_e32 v18, 6, v0
	v_lshlrev_b32_sdwa v0, v13, v8 dst_sel:DWORD dst_unused:UNUSED_PAD src0_sel:DWORD src1_sel:BYTE_0
	v_add_lshl_u32 v10, v0, v18, 2
	v_and_b32_e32 v0, 1, v8
	v_add_co_u32_e64 v1, s[0:1], -1, v0
	v_addc_co_u32_e64 v5, s[0:1], 0, -1, s[0:1]
	v_cmp_ne_u32_e64 s[0:1], 0, v0
	v_mov_b32_e32 v4, 0
	v_xor_b32_e32 v0, s1, v5
	v_lshlrev_b32_e32 v5, 30, v8
	v_xor_b32_e32 v1, s0, v1
	v_cmp_gt_i64_e64 s[0:1], 0, v[4:5]
	v_not_b32_e32 v5, v5
	v_ashrrev_i32_e32 v5, 31, v5
	v_and_b32_e32 v1, exec_lo, v1
	v_xor_b32_e32 v11, s1, v5
	v_xor_b32_e32 v5, s0, v5
	v_and_b32_e32 v1, v1, v5
	v_lshlrev_b32_e32 v5, 29, v8
	v_cmp_gt_i64_e64 s[0:1], 0, v[4:5]
	v_not_b32_e32 v5, v5
	v_and_b32_e32 v0, exec_hi, v0
	v_ashrrev_i32_e32 v5, 31, v5
	v_and_b32_e32 v0, v0, v11
	v_xor_b32_e32 v11, s1, v5
	v_xor_b32_e32 v5, s0, v5
	v_and_b32_e32 v1, v1, v5
	v_lshlrev_b32_e32 v5, 28, v8
	v_cmp_gt_i64_e64 s[0:1], 0, v[4:5]
	v_not_b32_e32 v5, v5
	v_ashrrev_i32_e32 v5, 31, v5
	v_and_b32_e32 v0, v0, v11
	v_xor_b32_e32 v11, s1, v5
	v_xor_b32_e32 v5, s0, v5
	v_and_b32_e32 v1, v1, v5
	v_lshlrev_b32_e32 v5, 27, v8
	v_cmp_gt_i64_e64 s[0:1], 0, v[4:5]
	v_not_b32_e32 v5, v5
	;; [unrolled: 8-line block ×4, first 2 shown]
	v_ashrrev_i32_e32 v5, 31, v5
	v_and_b32_e32 v0, v0, v11
	v_xor_b32_e32 v11, s1, v5
	v_xor_b32_e32 v5, s0, v5
	v_and_b32_e32 v0, v0, v11
	v_and_b32_e32 v11, v1, v5
	v_lshlrev_b32_e32 v5, 24, v8
	v_not_b32_e32 v1, v5
	v_cmp_gt_i64_e64 s[0:1], 0, v[4:5]
	v_ashrrev_i32_e32 v1, 31, v1
	v_xor_b32_e32 v5, s1, v1
	v_xor_b32_e32 v12, s0, v1
	v_and_b32_e32 v1, v0, v5
	v_and_b32_e32 v0, v11, v12
	v_mbcnt_lo_u32_b32 v5, v0, 0
	v_mbcnt_hi_u32_b32 v11, v1, v5
	v_cmp_eq_u32_e64 s[0:1], 0, v11
	v_cmp_ne_u64_e64 s[2:3], 0, v[0:1]
	v_lshlrev_b32_e32 v9, 2, v3
	s_and_b64 s[2:3], s[0:1], s[2:3]
	ds_write2_b32 v9, v4, v4 offset0:8 offset1:9
	ds_write2_b32 v9, v4, v4 offset0:10 offset1:11
	s_waitcnt lgkmcnt(0)
	s_barrier
	s_waitcnt lgkmcnt(0)
	; wave barrier
	s_and_saveexec_b64 s[0:1], s[2:3]
	s_cbranch_execz .LBB6_4
; %bb.3:
	v_bcnt_u32_b32 v0, v0, 0
	v_bcnt_u32_b32 v0, v1, v0
	ds_write_b32 v10, v0 offset:32
.LBB6_4:
	s_or_b64 exec, exec, s[0:1]
	v_lshlrev_b32_sdwa v0, v13, v8 dst_sel:DWORD dst_unused:UNUSED_PAD src0_sel:DWORD src1_sel:BYTE_1
	v_add_lshl_u32 v14, v0, v18, 2
	v_bfe_u32 v0, v8, 8, 1
	v_add_co_u32_e64 v1, s[0:1], -1, v0
	v_addc_co_u32_e64 v5, s[0:1], 0, -1, s[0:1]
	v_lshrrev_b32_e32 v12, 8, v8
	v_cmp_ne_u32_e64 s[0:1], 0, v0
	v_xor_b32_e32 v0, s1, v5
	v_lshlrev_b32_e32 v5, 30, v12
	v_xor_b32_e32 v1, s0, v1
	v_cmp_gt_i64_e64 s[0:1], 0, v[4:5]
	v_not_b32_e32 v5, v5
	v_ashrrev_i32_e32 v5, 31, v5
	v_and_b32_e32 v1, exec_lo, v1
	v_xor_b32_e32 v15, s1, v5
	v_xor_b32_e32 v5, s0, v5
	v_and_b32_e32 v1, v1, v5
	v_lshlrev_b32_e32 v5, 29, v12
	v_cmp_gt_i64_e64 s[0:1], 0, v[4:5]
	v_not_b32_e32 v5, v5
	v_and_b32_e32 v0, exec_hi, v0
	v_ashrrev_i32_e32 v5, 31, v5
	v_and_b32_e32 v0, v0, v15
	v_xor_b32_e32 v15, s1, v5
	v_xor_b32_e32 v5, s0, v5
	v_and_b32_e32 v1, v1, v5
	v_lshlrev_b32_e32 v5, 28, v12
	v_cmp_gt_i64_e64 s[0:1], 0, v[4:5]
	v_not_b32_e32 v5, v5
	v_ashrrev_i32_e32 v5, 31, v5
	v_and_b32_e32 v0, v0, v15
	v_xor_b32_e32 v15, s1, v5
	v_xor_b32_e32 v5, s0, v5
	v_and_b32_e32 v1, v1, v5
	v_lshlrev_b32_e32 v5, 27, v12
	v_cmp_gt_i64_e64 s[0:1], 0, v[4:5]
	v_not_b32_e32 v5, v5
	;; [unrolled: 8-line block ×4, first 2 shown]
	v_ashrrev_i32_e32 v5, 31, v5
	v_and_b32_e32 v0, v0, v15
	v_xor_b32_e32 v15, s1, v5
	v_xor_b32_e32 v5, s0, v5
	v_and_b32_e32 v0, v0, v15
	v_and_b32_e32 v15, v1, v5
	v_lshlrev_b32_e32 v5, 24, v12
	v_not_b32_e32 v1, v5
	v_cmp_gt_i64_e64 s[0:1], 0, v[4:5]
	v_ashrrev_i32_e32 v1, 31, v1
	v_xor_b32_e32 v4, s1, v1
	v_xor_b32_e32 v5, s0, v1
	; wave barrier
	ds_read_b32 v13, v14 offset:32
	v_and_b32_e32 v1, v0, v4
	v_and_b32_e32 v0, v15, v5
	v_mbcnt_lo_u32_b32 v4, v0, 0
	v_mbcnt_hi_u32_b32 v15, v1, v4
	v_cmp_eq_u32_e64 s[0:1], 0, v15
	v_cmp_ne_u64_e64 s[2:3], 0, v[0:1]
	s_and_b64 s[2:3], s[2:3], s[0:1]
	; wave barrier
	s_and_saveexec_b64 s[0:1], s[2:3]
	s_cbranch_execz .LBB6_6
; %bb.5:
	v_bcnt_u32_b32 v0, v0, 0
	v_bcnt_u32_b32 v0, v1, v0
	s_waitcnt lgkmcnt(0)
	v_add_u32_e32 v0, v13, v0
	ds_write_b32 v14, v0 offset:32
.LBB6_6:
	s_or_b64 exec, exec, s[0:1]
	v_bfe_u32 v1, v8, 16, 1
	v_add_co_u32_e64 v4, s[0:1], -1, v1
	v_addc_co_u32_e64 v5, s[0:1], 0, -1, s[0:1]
	v_mov_b32_e32 v0, 3
	v_cmp_ne_u32_e64 s[0:1], 0, v1
	v_lshrrev_b32_e32 v16, 16, v8
	v_lshlrev_b32_sdwa v0, v0, v8 dst_sel:DWORD dst_unused:UNUSED_PAD src0_sel:DWORD src1_sel:BYTE_2
	v_xor_b32_e32 v1, s1, v5
	v_add_lshl_u32 v19, v0, v18, 2
	v_mov_b32_e32 v0, 0
	v_and_b32_e32 v5, exec_hi, v1
	v_lshlrev_b32_e32 v1, 30, v16
	v_xor_b32_e32 v4, s0, v4
	v_cmp_gt_i64_e64 s[0:1], 0, v[0:1]
	v_not_b32_e32 v1, v1
	v_ashrrev_i32_e32 v1, 31, v1
	v_and_b32_e32 v4, exec_lo, v4
	v_xor_b32_e32 v20, s1, v1
	v_xor_b32_e32 v1, s0, v1
	v_and_b32_e32 v4, v4, v1
	v_lshlrev_b32_e32 v1, 29, v16
	v_cmp_gt_i64_e64 s[0:1], 0, v[0:1]
	v_not_b32_e32 v1, v1
	v_ashrrev_i32_e32 v1, 31, v1
	v_and_b32_e32 v5, v5, v20
	v_xor_b32_e32 v20, s1, v1
	v_xor_b32_e32 v1, s0, v1
	v_and_b32_e32 v4, v4, v1
	v_lshlrev_b32_e32 v1, 28, v16
	v_cmp_gt_i64_e64 s[0:1], 0, v[0:1]
	v_not_b32_e32 v1, v1
	v_ashrrev_i32_e32 v1, 31, v1
	v_and_b32_e32 v5, v5, v20
	;; [unrolled: 8-line block ×6, first 2 shown]
	v_xor_b32_e32 v20, s1, v1
	v_xor_b32_e32 v1, s0, v1
	; wave barrier
	ds_read_b32 v17, v19 offset:32
	v_and_b32_e32 v4, v4, v1
	v_and_b32_e32 v5, v5, v20
	v_mbcnt_lo_u32_b32 v1, v4, 0
	v_mbcnt_hi_u32_b32 v20, v5, v1
	v_cmp_eq_u32_e64 s[0:1], 0, v20
	v_cmp_ne_u64_e64 s[2:3], 0, v[4:5]
	s_and_b64 s[2:3], s[2:3], s[0:1]
	; wave barrier
	s_and_saveexec_b64 s[0:1], s[2:3]
	s_cbranch_execz .LBB6_8
; %bb.7:
	v_bcnt_u32_b32 v1, v4, 0
	v_bcnt_u32_b32 v1, v5, v1
	s_waitcnt lgkmcnt(0)
	v_add_u32_e32 v1, v17, v1
	ds_write_b32 v19, v1 offset:32
.LBB6_8:
	s_or_b64 exec, exec, s[0:1]
	v_lshrrev_b32_e32 v21, 24, v8
	v_lshlrev_b32_e32 v1, 3, v21
	v_add_lshl_u32 v22, v1, v18, 2
	v_bfe_u32 v1, v8, 24, 1
	v_add_co_u32_e64 v4, s[0:1], -1, v1
	v_addc_co_u32_e64 v5, s[0:1], 0, -1, s[0:1]
	v_cmp_ne_u32_e64 s[0:1], 0, v1
	v_xor_b32_e32 v1, s1, v5
	v_and_b32_e32 v5, exec_hi, v1
	v_lshlrev_b32_e32 v1, 30, v21
	v_xor_b32_e32 v4, s0, v4
	v_cmp_gt_i64_e64 s[0:1], 0, v[0:1]
	v_not_b32_e32 v1, v1
	v_ashrrev_i32_e32 v1, 31, v1
	v_and_b32_e32 v4, exec_lo, v4
	v_xor_b32_e32 v24, s1, v1
	v_xor_b32_e32 v1, s0, v1
	v_and_b32_e32 v4, v4, v1
	v_lshlrev_b32_e32 v1, 29, v21
	v_cmp_gt_i64_e64 s[0:1], 0, v[0:1]
	v_not_b32_e32 v1, v1
	v_ashrrev_i32_e32 v1, 31, v1
	v_and_b32_e32 v5, v5, v24
	v_xor_b32_e32 v24, s1, v1
	v_xor_b32_e32 v1, s0, v1
	v_and_b32_e32 v4, v4, v1
	v_lshlrev_b32_e32 v1, 28, v21
	v_cmp_gt_i64_e64 s[0:1], 0, v[0:1]
	v_not_b32_e32 v1, v1
	v_ashrrev_i32_e32 v1, 31, v1
	v_and_b32_e32 v5, v5, v24
	;; [unrolled: 8-line block ×5, first 2 shown]
	v_xor_b32_e32 v24, s1, v1
	v_xor_b32_e32 v1, s0, v1
	v_and_b32_e32 v4, v4, v1
	v_and_b32_e32 v1, 0xff000000, v8
	v_cmp_gt_i64_e64 s[0:1], 0, v[0:1]
	v_not_b32_e32 v0, v1
	v_ashrrev_i32_e32 v0, 31, v0
	v_xor_b32_e32 v1, s1, v0
	v_xor_b32_e32 v0, s0, v0
	; wave barrier
	ds_read_b32 v18, v22 offset:32
	v_and_b32_e32 v5, v5, v24
	v_and_b32_e32 v0, v4, v0
	;; [unrolled: 1-line block ×3, first 2 shown]
	v_mbcnt_lo_u32_b32 v4, v0, 0
	v_mbcnt_hi_u32_b32 v24, v1, v4
	v_cmp_eq_u32_e64 s[0:1], 0, v24
	v_cmp_ne_u64_e64 s[2:3], 0, v[0:1]
	v_add_u32_e32 v23, 32, v9
	s_and_b64 s[2:3], s[2:3], s[0:1]
	; wave barrier
	s_and_saveexec_b64 s[0:1], s[2:3]
	s_cbranch_execz .LBB6_10
; %bb.9:
	v_bcnt_u32_b32 v0, v0, 0
	v_bcnt_u32_b32 v0, v1, v0
	s_waitcnt lgkmcnt(0)
	v_add_u32_e32 v0, v18, v0
	ds_write_b32 v22, v0 offset:32
.LBB6_10:
	s_or_b64 exec, exec, s[0:1]
	; wave barrier
	s_waitcnt lgkmcnt(0)
	s_barrier
	ds_read2_b32 v[0:1], v9 offset0:8 offset1:9
	ds_read2_b32 v[4:5], v23 offset0:2 offset1:3
	s_waitcnt lgkmcnt(1)
	v_add_u32_e32 v25, v1, v0
	s_waitcnt lgkmcnt(0)
	v_add3_u32 v5, v25, v4, v5
	v_and_b32_e32 v25, 15, v6
	v_cmp_ne_u32_e64 s[0:1], 0, v25
	v_mov_b32_dpp v26, v5 row_shr:1 row_mask:0xf bank_mask:0xf
	v_cndmask_b32_e64 v26, 0, v26, s[0:1]
	v_add_u32_e32 v5, v26, v5
	v_cmp_lt_u32_e64 s[0:1], 1, v25
	s_nop 0
	v_mov_b32_dpp v26, v5 row_shr:2 row_mask:0xf bank_mask:0xf
	v_cndmask_b32_e64 v26, 0, v26, s[0:1]
	v_add_u32_e32 v5, v5, v26
	v_cmp_lt_u32_e64 s[0:1], 3, v25
	s_nop 0
	;; [unrolled: 5-line block ×3, first 2 shown]
	v_mov_b32_dpp v26, v5 row_shr:8 row_mask:0xf bank_mask:0xf
	v_cndmask_b32_e64 v25, 0, v26, s[0:1]
	v_add_u32_e32 v5, v5, v25
	v_bfe_i32 v26, v6, 4, 1
	v_cmp_lt_u32_e64 s[0:1], 31, v6
	v_mov_b32_dpp v25, v5 row_bcast:15 row_mask:0xf bank_mask:0xf
	v_and_b32_e32 v25, v26, v25
	v_add_u32_e32 v5, v5, v25
	v_and_b32_e32 v26, 0x3c0, v2
	v_min_u32_e32 v26, 0x1c0, v26
	v_mov_b32_dpp v25, v5 row_bcast:31 row_mask:0xf bank_mask:0xf
	v_cndmask_b32_e64 v25, 0, v25, s[0:1]
	v_or_b32_e32 v26, 63, v26
	v_add_u32_e32 v5, v5, v25
	v_lshrrev_b32_e32 v25, 6, v2
	v_cmp_eq_u32_e64 s[0:1], v26, v2
	s_and_saveexec_b64 s[2:3], s[0:1]
	s_cbranch_execz .LBB6_12
; %bb.11:
	v_lshlrev_b32_e32 v26, 2, v25
	ds_write_b32 v26, v5
.LBB6_12:
	s_or_b64 exec, exec, s[2:3]
	v_cmp_gt_u32_e64 s[0:1], 8, v2
	s_waitcnt lgkmcnt(0)
	s_barrier
	s_and_saveexec_b64 s[2:3], s[0:1]
	s_cbranch_execz .LBB6_14
; %bb.13:
	ds_read_b32 v26, v3
	v_and_b32_e32 v27, 7, v6
	v_cmp_ne_u32_e64 s[0:1], 0, v27
	s_waitcnt lgkmcnt(0)
	v_mov_b32_dpp v28, v26 row_shr:1 row_mask:0xf bank_mask:0xf
	v_cndmask_b32_e64 v28, 0, v28, s[0:1]
	v_add_u32_e32 v26, v28, v26
	v_cmp_lt_u32_e64 s[0:1], 1, v27
	s_nop 0
	v_mov_b32_dpp v28, v26 row_shr:2 row_mask:0xf bank_mask:0xf
	v_cndmask_b32_e64 v28, 0, v28, s[0:1]
	v_add_u32_e32 v26, v26, v28
	v_cmp_lt_u32_e64 s[0:1], 3, v27
	s_nop 0
	v_mov_b32_dpp v28, v26 row_shr:4 row_mask:0xf bank_mask:0xf
	v_cndmask_b32_e64 v27, 0, v28, s[0:1]
	v_add_u32_e32 v26, v26, v27
	ds_write_b32 v3, v26
.LBB6_14:
	s_or_b64 exec, exec, s[2:3]
	v_cmp_lt_u32_e64 s[0:1], 63, v2
	v_mov_b32_e32 v26, 0
	s_waitcnt lgkmcnt(0)
	s_barrier
	s_and_saveexec_b64 s[2:3], s[0:1]
	s_cbranch_execz .LBB6_16
; %bb.15:
	v_lshl_add_u32 v25, v25, 2, -4
	ds_read_b32 v26, v25
.LBB6_16:
	s_or_b64 exec, exec, s[2:3]
	v_add_u32_e32 v25, -1, v6
	v_cmp_lt_i32_e64 s[0:1], v25, v7
	v_cndmask_b32_e64 v7, v25, v6, s[0:1]
	s_waitcnt lgkmcnt(0)
	v_add_u32_e32 v5, v26, v5
	v_lshlrev_b32_e32 v7, 2, v7
	ds_bpermute_b32 v5, v7, v5
	v_cmp_eq_u32_e64 s[0:1], 0, v6
	v_cmp_ne_u32_e64 s[2:3], 0, v2
	s_waitcnt lgkmcnt(0)
	v_cndmask_b32_e64 v5, v5, v26, s[0:1]
	v_cmp_eq_u32_e64 s[0:1], 0, v2
	v_cndmask_b32_e64 v5, v5, 0, s[0:1]
	v_add_u32_e32 v0, v5, v0
	v_add_u32_e32 v1, v0, v1
	;; [unrolled: 1-line block ×3, first 2 shown]
	ds_write2_b32 v9, v5, v0 offset0:8 offset1:9
	ds_write2_b32 v23, v1, v4 offset0:2 offset1:3
	s_waitcnt lgkmcnt(0)
	s_barrier
	ds_read_b32 v0, v10 offset:32
	ds_read_b32 v1, v14 offset:32
	;; [unrolled: 1-line block ×4, first 2 shown]
	s_waitcnt lgkmcnt(0)
	v_add_u32_e32 v0, v0, v11
	v_add3_u32 v1, v15, v13, v1
	v_add3_u32 v4, v20, v17, v4
	;; [unrolled: 1-line block ×3, first 2 shown]
	s_barrier
	ds_write_b8 v0, v8
	ds_write_b8 v1, v12
	ds_write_b8 v4, v16
	ds_write_b8 v5, v21
	s_waitcnt lgkmcnt(0)
	s_barrier
	ds_read_u8 v0, v3
	ds_read_u8 v1, v3 offset:1
	ds_read_u8 v4, v3 offset:2
	ds_read_u8 v5, v3 offset:3
	s_waitcnt lgkmcnt(0)
	s_barrier
	s_and_saveexec_b64 s[4:5], vcc
	s_cbranch_execz .LBB6_18
; %bb.17:
	v_mov_b32_e32 v6, 0x800
	ds_write2st64_b32 v3, v6, v6 offset0:4 offset1:12
.LBB6_18:
	s_or_b64 exec, exec, s[4:5]
	v_cmp_ne_u16_sdwa s[8:9], v4, v5 src0_sel:BYTE_0 src1_sel:BYTE_0
	s_waitcnt lgkmcnt(0)
	s_barrier
	ds_write_b8 v2, v5
	s_and_saveexec_b64 s[4:5], s[8:9]
	s_cbranch_execz .LBB6_20
; %bb.19:
	v_mov_b32_e32 v7, 2
	v_or_b32_e32 v6, 3, v3
	v_lshlrev_b32_sdwa v5, v7, v5 dst_sel:DWORD dst_unused:UNUSED_PAD src0_sel:DWORD src1_sel:BYTE_0
	v_lshlrev_b32_sdwa v8, v7, v4 dst_sel:DWORD dst_unused:UNUSED_PAD src0_sel:DWORD src1_sel:BYTE_0
	ds_write_b32 v5, v6 offset:1024
	ds_write_b32 v8, v6 offset:3072
.LBB6_20:
	s_or_b64 exec, exec, s[4:5]
	v_and_b32_e32 v5, 0xff, v1
	v_cmp_ne_u16_sdwa s[8:9], v5, v4 src0_sel:DWORD src1_sel:BYTE_0
	s_and_saveexec_b64 s[4:5], s[8:9]
	s_cbranch_execz .LBB6_22
; %bb.21:
	v_mov_b32_e32 v6, 2
	v_or_b32_e32 v5, 2, v3
	v_lshlrev_b32_sdwa v4, v6, v4 dst_sel:DWORD dst_unused:UNUSED_PAD src0_sel:DWORD src1_sel:BYTE_0
	v_lshlrev_b32_sdwa v7, v6, v1 dst_sel:DWORD dst_unused:UNUSED_PAD src0_sel:DWORD src1_sel:BYTE_0
	ds_write_b32 v4, v5 offset:1024
	ds_write_b32 v7, v5 offset:3072
.LBB6_22:
	s_or_b64 exec, exec, s[4:5]
	v_cmp_ne_u16_sdwa s[8:9], v0, v1 src0_sel:BYTE_0 src1_sel:BYTE_0
	s_and_saveexec_b64 s[4:5], s[8:9]
	s_cbranch_execz .LBB6_24
; %bb.23:
	v_mov_b32_e32 v5, 2
	v_or_b32_e32 v4, 1, v3
	v_lshlrev_b32_sdwa v1, v5, v1 dst_sel:DWORD dst_unused:UNUSED_PAD src0_sel:DWORD src1_sel:BYTE_0
	v_lshlrev_b32_sdwa v6, v5, v0 dst_sel:DWORD dst_unused:UNUSED_PAD src0_sel:DWORD src1_sel:BYTE_0
	ds_write_b32 v1, v4 offset:1024
	ds_write_b32 v6, v4 offset:3072
.LBB6_24:
	s_or_b64 exec, exec, s[4:5]
	s_waitcnt lgkmcnt(0)
	s_barrier
	s_and_saveexec_b64 s[4:5], s[2:3]
	s_cbranch_execz .LBB6_27
; %bb.25:
	v_add_u32_e32 v1, -1, v2
	ds_read_u8 v1, v1
	s_waitcnt lgkmcnt(0)
	v_cmp_ne_u16_sdwa s[2:3], v1, v0 src0_sel:DWORD src1_sel:BYTE_0
	s_and_b64 exec, exec, s[2:3]
	s_cbranch_execz .LBB6_27
; %bb.26:
	v_mov_b32_e32 v4, 2
	v_lshlrev_b32_sdwa v5, v4, v0 dst_sel:DWORD dst_unused:UNUSED_PAD src0_sel:DWORD src1_sel:BYTE_0
	v_lshlrev_b32_sdwa v1, v4, v1 dst_sel:DWORD dst_unused:UNUSED_PAD src0_sel:DWORD src1_sel:WORD_0
	ds_write_b32 v5, v3 offset:1024
	ds_write_b32 v1, v3 offset:3072
.LBB6_27:
	s_or_b64 exec, exec, s[4:5]
	s_waitcnt lgkmcnt(0)
	s_barrier
	s_and_saveexec_b64 s[2:3], s[0:1]
	s_cbranch_execz .LBB6_29
; %bb.28:
	v_mov_b32_e32 v1, 2
	v_lshlrev_b32_sdwa v0, v1, v0 dst_sel:DWORD dst_unused:UNUSED_PAD src0_sel:DWORD src1_sel:BYTE_0
	v_mov_b32_e32 v1, 0
	ds_write_b32 v0, v1 offset:1024
.LBB6_29:
	s_or_b64 exec, exec, s[2:3]
	s_waitcnt lgkmcnt(0)
	s_barrier
	s_and_saveexec_b64 s[0:1], vcc
	s_cbranch_execz .LBB6_31
; %bb.30:
	ds_read2st64_b32 v[0:1], v3 offset0:4 offset1:12
	ds_read_u8 v3, v2 offset:8224
	s_waitcnt lgkmcnt(1)
	v_sub_u32_e32 v0, v1, v0
	s_waitcnt lgkmcnt(0)
	v_add_u16_e32 v0, v3, v0
	ds_write_b8 v2, v0 offset:8224
.LBB6_31:
	s_or_b64 exec, exec, s[0:1]
	s_waitcnt lgkmcnt(0)
	s_barrier
	s_and_saveexec_b64 s[0:1], vcc
	s_cbranch_execz .LBB6_33
; %bb.32:
	ds_read_u8 v0, v2 offset:8224
	v_lshl_or_b32 v1, s6, 9, v2
	s_waitcnt lgkmcnt(0)
	global_store_byte v1, v0, s[14:15]
.LBB6_33:
	s_endpgm
	.section	.rodata,"a",@progbits
	.p2align	6, 0x0
	.amdhsa_kernel _Z16histogram_kernelILj512ELj4ELj512ELN6hipcub23BlockHistogramAlgorithmE1EhEvPT3_S3_
		.amdhsa_group_segment_fixed_size 8736
		.amdhsa_private_segment_fixed_size 0
		.amdhsa_kernarg_size 272
		.amdhsa_user_sgpr_count 6
		.amdhsa_user_sgpr_private_segment_buffer 1
		.amdhsa_user_sgpr_dispatch_ptr 0
		.amdhsa_user_sgpr_queue_ptr 0
		.amdhsa_user_sgpr_kernarg_segment_ptr 1
		.amdhsa_user_sgpr_dispatch_id 0
		.amdhsa_user_sgpr_flat_scratch_init 0
		.amdhsa_user_sgpr_kernarg_preload_length 0
		.amdhsa_user_sgpr_kernarg_preload_offset 0
		.amdhsa_user_sgpr_private_segment_size 0
		.amdhsa_uses_dynamic_stack 0
		.amdhsa_system_sgpr_private_segment_wavefront_offset 0
		.amdhsa_system_sgpr_workgroup_id_x 1
		.amdhsa_system_sgpr_workgroup_id_y 0
		.amdhsa_system_sgpr_workgroup_id_z 0
		.amdhsa_system_sgpr_workgroup_info 0
		.amdhsa_system_vgpr_workitem_id 2
		.amdhsa_next_free_vgpr 29
		.amdhsa_next_free_sgpr 16
		.amdhsa_accum_offset 32
		.amdhsa_reserve_vcc 1
		.amdhsa_reserve_flat_scratch 0
		.amdhsa_float_round_mode_32 0
		.amdhsa_float_round_mode_16_64 0
		.amdhsa_float_denorm_mode_32 3
		.amdhsa_float_denorm_mode_16_64 3
		.amdhsa_dx10_clamp 1
		.amdhsa_ieee_mode 1
		.amdhsa_fp16_overflow 0
		.amdhsa_tg_split 0
		.amdhsa_exception_fp_ieee_invalid_op 0
		.amdhsa_exception_fp_denorm_src 0
		.amdhsa_exception_fp_ieee_div_zero 0
		.amdhsa_exception_fp_ieee_overflow 0
		.amdhsa_exception_fp_ieee_underflow 0
		.amdhsa_exception_fp_ieee_inexact 0
		.amdhsa_exception_int_div_zero 0
	.end_amdhsa_kernel
	.section	.text._Z16histogram_kernelILj512ELj4ELj512ELN6hipcub23BlockHistogramAlgorithmE1EhEvPT3_S3_,"axG",@progbits,_Z16histogram_kernelILj512ELj4ELj512ELN6hipcub23BlockHistogramAlgorithmE1EhEvPT3_S3_,comdat
.Lfunc_end6:
	.size	_Z16histogram_kernelILj512ELj4ELj512ELN6hipcub23BlockHistogramAlgorithmE1EhEvPT3_S3_, .Lfunc_end6-_Z16histogram_kernelILj512ELj4ELj512ELN6hipcub23BlockHistogramAlgorithmE1EhEvPT3_S3_
                                        ; -- End function
	.section	.AMDGPU.csdata,"",@progbits
; Kernel info:
; codeLenInByte = 3812
; NumSgprs: 20
; NumVgprs: 29
; NumAgprs: 0
; TotalNumVgprs: 29
; ScratchSize: 0
; MemoryBound: 0
; FloatMode: 240
; IeeeMode: 1
; LDSByteSize: 8736 bytes/workgroup (compile time only)
; SGPRBlocks: 2
; VGPRBlocks: 3
; NumSGPRsForWavesPerEU: 20
; NumVGPRsForWavesPerEU: 29
; AccumOffset: 32
; Occupancy: 8
; WaveLimiterHint : 0
; COMPUTE_PGM_RSRC2:SCRATCH_EN: 0
; COMPUTE_PGM_RSRC2:USER_SGPR: 6
; COMPUTE_PGM_RSRC2:TRAP_HANDLER: 0
; COMPUTE_PGM_RSRC2:TGID_X_EN: 1
; COMPUTE_PGM_RSRC2:TGID_Y_EN: 0
; COMPUTE_PGM_RSRC2:TGID_Z_EN: 0
; COMPUTE_PGM_RSRC2:TIDIG_COMP_CNT: 2
; COMPUTE_PGM_RSRC3_GFX90A:ACCUM_OFFSET: 7
; COMPUTE_PGM_RSRC3_GFX90A:TG_SPLIT: 0
	.section	.text._Z16histogram_kernelILj256ELj3ELj512ELN6hipcub23BlockHistogramAlgorithmE1EhEvPT3_S3_,"axG",@progbits,_Z16histogram_kernelILj256ELj3ELj512ELN6hipcub23BlockHistogramAlgorithmE1EhEvPT3_S3_,comdat
	.protected	_Z16histogram_kernelILj256ELj3ELj512ELN6hipcub23BlockHistogramAlgorithmE1EhEvPT3_S3_ ; -- Begin function _Z16histogram_kernelILj256ELj3ELj512ELN6hipcub23BlockHistogramAlgorithmE1EhEvPT3_S3_
	.globl	_Z16histogram_kernelILj256ELj3ELj512ELN6hipcub23BlockHistogramAlgorithmE1EhEvPT3_S3_
	.p2align	8
	.type	_Z16histogram_kernelILj256ELj3ELj512ELN6hipcub23BlockHistogramAlgorithmE1EhEvPT3_S3_,@function
_Z16histogram_kernelILj256ELj3ELj512ELN6hipcub23BlockHistogramAlgorithmE1EhEvPT3_S3_: ; @_Z16histogram_kernelILj256ELj3ELj512ELN6hipcub23BlockHistogramAlgorithmE1EhEvPT3_S3_
; %bb.0:
	s_load_dwordx4 s[8:11], s[4:5], 0x0
	v_and_b32_e32 v2, 0x3ff, v0
	v_lshl_or_b32 v1, s6, 8, v2
	v_lshl_add_u32 v5, v1, 1, v1
	v_add_u32_e32 v6, 1, v5
	v_add_u32_e32 v7, 2, v5
	s_waitcnt lgkmcnt(0)
	global_load_ubyte v1, v5, s[8:9]
	global_load_ubyte v3, v6, s[8:9]
	;; [unrolled: 1-line block ×3, first 2 shown]
	s_movk_i32 s0, 0x200
	v_cmp_gt_u32_e64 s[0:1], s0, v2
	s_and_saveexec_b64 s[2:3], s[0:1]
	s_cbranch_execz .LBB7_2
; %bb.1:
	v_mov_b32_e32 v5, 0
	ds_write_b8 v2, v5 offset:4608
.LBB7_2:
	s_or_b64 exec, exec, s[2:3]
	s_movk_i32 s2, 0x100
	v_cmp_gt_u32_e32 vcc, s2, v2
	s_and_saveexec_b64 s[2:3], vcc
	s_cbranch_execz .LBB7_4
; %bb.3:
	v_mov_b32_e32 v5, 0
	ds_write_b8 v2, v5 offset:4864
.LBB7_4:
	s_or_b64 exec, exec, s[2:3]
	v_mbcnt_lo_u32_b32 v5, -1, 0
	v_lshrrev_b32_e32 v9, 6, v2
	v_mbcnt_hi_u32_b32 v8, -1, v5
	v_mul_u32_u24_e32 v5, 0xc0, v9
	s_movk_i32 s2, 0xc0
	v_mad_u32_u24 v5, v8, 3, v5
	s_waitcnt lgkmcnt(0)
	s_barrier
	s_waitcnt vmcnt(2)
	ds_write_b8 v5, v1
	s_waitcnt vmcnt(1)
	ds_write_b8 v5, v3 offset:1
	s_waitcnt vmcnt(0)
	ds_write_b8 v5, v4 offset:2
	v_mad_u32_u24 v1, v9, s2, v8
	; wave barrier
	ds_read_u8 v3, v1
	ds_read_u8 v6, v1 offset:64
	ds_read_u8 v7, v1 offset:128
	; wave barrier
	; wave barrier
	s_waitcnt lgkmcnt(0)
	s_barrier
	s_load_dword s2, s[4:5], 0x1c
	v_bfe_u32 v1, v0, 10, 10
	v_bfe_u32 v0, v0, 20, 10
	v_mov_b32_e32 v13, 2
	v_mov_b32_e32 v4, 0
	s_waitcnt lgkmcnt(0)
	s_lshr_b32 s3, s2, 16
	s_and_b32 s2, s2, 0xffff
	v_mad_u32_u24 v0, v0, s3, v1
	v_mad_u64_u32 v[0:1], s[2:3], v0, s2, v[2:3]
	v_lshrrev_b32_e32 v16, 6, v0
	v_lshlrev_b32_sdwa v0, v13, v3 dst_sel:DWORD dst_unused:UNUSED_PAD src0_sel:DWORD src1_sel:BYTE_0
	v_add_lshl_u32 v11, v16, v0, 2
	v_and_b32_e32 v0, 1, v3
	v_add_co_u32_e64 v1, s[2:3], -1, v0
	v_addc_co_u32_e64 v5, s[2:3], 0, -1, s[2:3]
	v_cmp_ne_u32_e64 s[2:3], 0, v0
	v_xor_b32_e32 v0, s3, v5
	v_lshlrev_b32_e32 v5, 30, v3
	v_xor_b32_e32 v1, s2, v1
	v_cmp_gt_i64_e64 s[2:3], 0, v[4:5]
	v_not_b32_e32 v5, v5
	v_ashrrev_i32_e32 v5, 31, v5
	v_and_b32_e32 v1, exec_lo, v1
	v_xor_b32_e32 v12, s3, v5
	v_xor_b32_e32 v5, s2, v5
	v_and_b32_e32 v1, v1, v5
	v_lshlrev_b32_e32 v5, 29, v3
	v_cmp_gt_i64_e64 s[2:3], 0, v[4:5]
	v_not_b32_e32 v5, v5
	v_and_b32_e32 v0, exec_hi, v0
	v_ashrrev_i32_e32 v5, 31, v5
	v_and_b32_e32 v0, v0, v12
	v_xor_b32_e32 v12, s3, v5
	v_xor_b32_e32 v5, s2, v5
	v_and_b32_e32 v1, v1, v5
	v_lshlrev_b32_e32 v5, 28, v3
	v_cmp_gt_i64_e64 s[2:3], 0, v[4:5]
	v_not_b32_e32 v5, v5
	v_ashrrev_i32_e32 v5, 31, v5
	v_and_b32_e32 v0, v0, v12
	v_xor_b32_e32 v12, s3, v5
	v_xor_b32_e32 v5, s2, v5
	v_and_b32_e32 v1, v1, v5
	v_lshlrev_b32_e32 v5, 27, v3
	v_cmp_gt_i64_e64 s[2:3], 0, v[4:5]
	v_not_b32_e32 v5, v5
	;; [unrolled: 8-line block ×4, first 2 shown]
	v_ashrrev_i32_e32 v5, 31, v5
	v_and_b32_e32 v0, v0, v12
	v_xor_b32_e32 v12, s3, v5
	v_xor_b32_e32 v5, s2, v5
	v_and_b32_e32 v0, v0, v12
	v_and_b32_e32 v12, v1, v5
	v_lshlrev_b32_e32 v5, 24, v3
	v_not_b32_e32 v1, v5
	v_cmp_gt_i64_e64 s[2:3], 0, v[4:5]
	v_ashrrev_i32_e32 v1, 31, v1
	v_xor_b32_e32 v5, s3, v1
	v_xor_b32_e32 v14, s2, v1
	v_and_b32_e32 v1, v0, v5
	v_and_b32_e32 v0, v12, v14
	v_mbcnt_lo_u32_b32 v5, v0, 0
	v_mbcnt_hi_u32_b32 v12, v1, v5
	v_cmp_eq_u32_e64 s[2:3], 0, v12
	v_cmp_ne_u64_e64 s[4:5], 0, v[0:1]
	v_lshlrev_b32_e32 v10, 4, v2
	s_and_b64 s[4:5], s[4:5], s[2:3]
	ds_write2_b32 v10, v4, v4 offset0:4 offset1:5
	ds_write2_b32 v10, v4, v4 offset0:6 offset1:7
	s_waitcnt lgkmcnt(0)
	s_barrier
	s_waitcnt lgkmcnt(0)
	; wave barrier
	s_and_saveexec_b64 s[2:3], s[4:5]
	s_cbranch_execz .LBB7_6
; %bb.5:
	v_bcnt_u32_b32 v0, v0, 0
	v_bcnt_u32_b32 v0, v1, v0
	ds_write_b32 v11, v0 offset:16
.LBB7_6:
	s_or_b64 exec, exec, s[2:3]
	v_lshlrev_b32_sdwa v0, v13, v6 dst_sel:DWORD dst_unused:UNUSED_PAD src0_sel:DWORD src1_sel:BYTE_0
	v_add_lshl_u32 v14, v16, v0, 2
	v_and_b32_e32 v0, 1, v6
	v_add_co_u32_e64 v1, s[2:3], -1, v0
	v_addc_co_u32_e64 v5, s[2:3], 0, -1, s[2:3]
	v_cmp_ne_u32_e64 s[2:3], 0, v0
	v_xor_b32_e32 v0, s3, v5
	v_lshlrev_b32_e32 v5, 30, v6
	v_xor_b32_e32 v1, s2, v1
	v_cmp_gt_i64_e64 s[2:3], 0, v[4:5]
	v_not_b32_e32 v5, v5
	v_ashrrev_i32_e32 v5, 31, v5
	v_and_b32_e32 v1, exec_lo, v1
	v_xor_b32_e32 v15, s3, v5
	v_xor_b32_e32 v5, s2, v5
	v_and_b32_e32 v1, v1, v5
	v_lshlrev_b32_e32 v5, 29, v6
	v_cmp_gt_i64_e64 s[2:3], 0, v[4:5]
	v_not_b32_e32 v5, v5
	v_and_b32_e32 v0, exec_hi, v0
	v_ashrrev_i32_e32 v5, 31, v5
	v_and_b32_e32 v0, v0, v15
	v_xor_b32_e32 v15, s3, v5
	v_xor_b32_e32 v5, s2, v5
	v_and_b32_e32 v1, v1, v5
	v_lshlrev_b32_e32 v5, 28, v6
	v_cmp_gt_i64_e64 s[2:3], 0, v[4:5]
	v_not_b32_e32 v5, v5
	v_ashrrev_i32_e32 v5, 31, v5
	v_and_b32_e32 v0, v0, v15
	v_xor_b32_e32 v15, s3, v5
	v_xor_b32_e32 v5, s2, v5
	v_and_b32_e32 v1, v1, v5
	v_lshlrev_b32_e32 v5, 27, v6
	v_cmp_gt_i64_e64 s[2:3], 0, v[4:5]
	v_not_b32_e32 v5, v5
	;; [unrolled: 8-line block ×4, first 2 shown]
	v_ashrrev_i32_e32 v5, 31, v5
	v_and_b32_e32 v0, v0, v15
	v_xor_b32_e32 v15, s3, v5
	v_xor_b32_e32 v5, s2, v5
	v_and_b32_e32 v0, v0, v15
	v_and_b32_e32 v15, v1, v5
	v_lshlrev_b32_e32 v5, 24, v6
	v_not_b32_e32 v1, v5
	v_cmp_gt_i64_e64 s[2:3], 0, v[4:5]
	v_ashrrev_i32_e32 v1, 31, v1
	v_xor_b32_e32 v4, s3, v1
	v_xor_b32_e32 v5, s2, v1
	; wave barrier
	ds_read_b32 v13, v14 offset:16
	v_and_b32_e32 v1, v0, v4
	v_and_b32_e32 v0, v15, v5
	v_mbcnt_lo_u32_b32 v4, v0, 0
	v_mbcnt_hi_u32_b32 v15, v1, v4
	v_cmp_eq_u32_e64 s[2:3], 0, v15
	v_cmp_ne_u64_e64 s[4:5], 0, v[0:1]
	s_and_b64 s[4:5], s[4:5], s[2:3]
	; wave barrier
	s_and_saveexec_b64 s[2:3], s[4:5]
	s_cbranch_execz .LBB7_8
; %bb.7:
	v_bcnt_u32_b32 v0, v0, 0
	v_bcnt_u32_b32 v0, v1, v0
	s_waitcnt lgkmcnt(0)
	v_add_u32_e32 v0, v13, v0
	ds_write_b32 v14, v0 offset:16
.LBB7_8:
	s_or_b64 exec, exec, s[2:3]
	v_and_b32_e32 v1, 1, v7
	v_add_co_u32_e64 v4, s[2:3], -1, v1
	v_addc_co_u32_e64 v5, s[2:3], 0, -1, s[2:3]
	v_mov_b32_e32 v0, 2
	v_cmp_ne_u32_e64 s[2:3], 0, v1
	v_lshlrev_b32_sdwa v0, v0, v7 dst_sel:DWORD dst_unused:UNUSED_PAD src0_sel:DWORD src1_sel:BYTE_0
	v_xor_b32_e32 v1, s3, v5
	v_add_lshl_u32 v17, v16, v0, 2
	v_mov_b32_e32 v0, 0
	v_and_b32_e32 v5, exec_hi, v1
	v_lshlrev_b32_e32 v1, 30, v7
	v_xor_b32_e32 v4, s2, v4
	v_cmp_gt_i64_e64 s[2:3], 0, v[0:1]
	v_not_b32_e32 v1, v1
	v_ashrrev_i32_e32 v1, 31, v1
	v_and_b32_e32 v4, exec_lo, v4
	v_xor_b32_e32 v19, s3, v1
	v_xor_b32_e32 v1, s2, v1
	v_and_b32_e32 v4, v4, v1
	v_lshlrev_b32_e32 v1, 29, v7
	v_cmp_gt_i64_e64 s[2:3], 0, v[0:1]
	v_not_b32_e32 v1, v1
	v_ashrrev_i32_e32 v1, 31, v1
	v_and_b32_e32 v5, v5, v19
	v_xor_b32_e32 v19, s3, v1
	v_xor_b32_e32 v1, s2, v1
	v_and_b32_e32 v4, v4, v1
	v_lshlrev_b32_e32 v1, 28, v7
	v_cmp_gt_i64_e64 s[2:3], 0, v[0:1]
	v_not_b32_e32 v1, v1
	v_ashrrev_i32_e32 v1, 31, v1
	v_and_b32_e32 v5, v5, v19
	;; [unrolled: 8-line block ×5, first 2 shown]
	v_xor_b32_e32 v19, s3, v1
	v_xor_b32_e32 v1, s2, v1
	v_and_b32_e32 v4, v4, v1
	v_lshlrev_b32_e32 v1, 24, v7
	v_cmp_gt_i64_e64 s[2:3], 0, v[0:1]
	v_not_b32_e32 v0, v1
	v_ashrrev_i32_e32 v0, 31, v0
	v_xor_b32_e32 v1, s3, v0
	v_xor_b32_e32 v0, s2, v0
	; wave barrier
	ds_read_b32 v16, v17 offset:16
	v_and_b32_e32 v5, v5, v19
	v_and_b32_e32 v0, v4, v0
	;; [unrolled: 1-line block ×3, first 2 shown]
	v_mbcnt_lo_u32_b32 v4, v0, 0
	v_mbcnt_hi_u32_b32 v19, v1, v4
	v_cmp_eq_u32_e64 s[2:3], 0, v19
	v_cmp_ne_u64_e64 s[4:5], 0, v[0:1]
	v_add_u32_e32 v18, 16, v10
	s_and_b64 s[4:5], s[4:5], s[2:3]
	; wave barrier
	s_and_saveexec_b64 s[2:3], s[4:5]
	s_cbranch_execz .LBB7_10
; %bb.9:
	v_bcnt_u32_b32 v0, v0, 0
	v_bcnt_u32_b32 v0, v1, v0
	s_waitcnt lgkmcnt(0)
	v_add_u32_e32 v0, v16, v0
	ds_write_b32 v17, v0 offset:16
.LBB7_10:
	s_or_b64 exec, exec, s[2:3]
	; wave barrier
	s_waitcnt lgkmcnt(0)
	s_barrier
	ds_read2_b32 v[0:1], v10 offset0:4 offset1:5
	ds_read2_b32 v[4:5], v18 offset0:2 offset1:3
	s_waitcnt lgkmcnt(1)
	v_add_u32_e32 v20, v1, v0
	s_waitcnt lgkmcnt(0)
	v_add3_u32 v5, v20, v4, v5
	v_and_b32_e32 v20, 15, v8
	v_cmp_ne_u32_e64 s[2:3], 0, v20
	v_mov_b32_dpp v21, v5 row_shr:1 row_mask:0xf bank_mask:0xf
	v_cndmask_b32_e64 v21, 0, v21, s[2:3]
	v_add_u32_e32 v5, v21, v5
	v_cmp_lt_u32_e64 s[2:3], 1, v20
	s_nop 0
	v_mov_b32_dpp v21, v5 row_shr:2 row_mask:0xf bank_mask:0xf
	v_cndmask_b32_e64 v21, 0, v21, s[2:3]
	v_add_u32_e32 v5, v5, v21
	v_cmp_lt_u32_e64 s[2:3], 3, v20
	s_nop 0
	;; [unrolled: 5-line block ×3, first 2 shown]
	v_mov_b32_dpp v21, v5 row_shr:8 row_mask:0xf bank_mask:0xf
	v_cndmask_b32_e64 v20, 0, v21, s[2:3]
	v_add_u32_e32 v5, v5, v20
	v_bfe_i32 v21, v8, 4, 1
	v_cmp_lt_u32_e64 s[2:3], 31, v8
	v_mov_b32_dpp v20, v5 row_bcast:15 row_mask:0xf bank_mask:0xf
	v_and_b32_e32 v20, v21, v20
	v_add_u32_e32 v5, v5, v20
	s_nop 1
	v_mov_b32_dpp v20, v5 row_bcast:31 row_mask:0xf bank_mask:0xf
	v_cndmask_b32_e64 v20, 0, v20, s[2:3]
	v_add_u32_e32 v20, v5, v20
	v_and_b32_e32 v5, 0x3c0, v2
	v_min_u32_e32 v5, 0xc0, v5
	v_or_b32_e32 v5, 63, v5
	v_cmp_eq_u32_e64 s[2:3], v5, v2
	s_and_saveexec_b64 s[4:5], s[2:3]
	s_cbranch_execz .LBB7_12
; %bb.11:
	v_lshlrev_b32_e32 v5, 2, v9
	ds_write_b32 v5, v20
.LBB7_12:
	s_or_b64 exec, exec, s[4:5]
	v_cmp_gt_u32_e64 s[2:3], 4, v2
	v_lshlrev_b32_e32 v5, 2, v2
	s_waitcnt lgkmcnt(0)
	s_barrier
	s_and_saveexec_b64 s[4:5], s[2:3]
	s_cbranch_execz .LBB7_14
; %bb.13:
	ds_read_b32 v21, v5
	v_and_b32_e32 v22, 3, v8
	v_cmp_ne_u32_e64 s[2:3], 0, v22
	s_waitcnt lgkmcnt(0)
	v_mov_b32_dpp v23, v21 row_shr:1 row_mask:0xf bank_mask:0xf
	v_cndmask_b32_e64 v23, 0, v23, s[2:3]
	v_add_u32_e32 v21, v23, v21
	v_cmp_lt_u32_e64 s[2:3], 1, v22
	s_nop 0
	v_mov_b32_dpp v23, v21 row_shr:2 row_mask:0xf bank_mask:0xf
	v_cndmask_b32_e64 v22, 0, v23, s[2:3]
	v_add_u32_e32 v21, v21, v22
	ds_write_b32 v5, v21
.LBB7_14:
	s_or_b64 exec, exec, s[4:5]
	v_cmp_lt_u32_e64 s[2:3], 63, v2
	v_mov_b32_e32 v21, 0
	s_waitcnt lgkmcnt(0)
	s_barrier
	s_and_saveexec_b64 s[4:5], s[2:3]
	s_cbranch_execz .LBB7_16
; %bb.15:
	v_lshl_add_u32 v9, v9, 2, -4
	ds_read_b32 v21, v9
.LBB7_16:
	s_or_b64 exec, exec, s[4:5]
	s_waitcnt lgkmcnt(0)
	v_add_u32_e32 v9, v21, v20
	v_add_u32_e32 v20, -1, v8
	v_and_b32_e32 v22, 64, v8
	v_cmp_lt_i32_e64 s[2:3], v20, v22
	v_cndmask_b32_e64 v20, v20, v8, s[2:3]
	v_lshlrev_b32_e32 v20, 2, v20
	ds_bpermute_b32 v9, v20, v9
	v_cmp_eq_u32_e64 s[2:3], 0, v8
	v_cmp_ne_u32_e64 s[4:5], 0, v2
	s_waitcnt lgkmcnt(0)
	v_cndmask_b32_e64 v8, v9, v21, s[2:3]
	v_cmp_eq_u32_e64 s[2:3], 0, v2
	v_cndmask_b32_e64 v8, v8, 0, s[2:3]
	v_add_u32_e32 v0, v8, v0
	v_add_u32_e32 v1, v0, v1
	;; [unrolled: 1-line block ×3, first 2 shown]
	ds_write2_b32 v10, v8, v0 offset0:4 offset1:5
	ds_write2_b32 v18, v1, v4 offset0:2 offset1:3
	s_waitcnt lgkmcnt(0)
	s_barrier
	ds_read_b32 v0, v11 offset:16
	ds_read_b32 v1, v14 offset:16
	ds_read_b32 v4, v17 offset:16
	s_waitcnt lgkmcnt(0)
	s_barrier
	v_add_u32_e32 v0, v0, v12
	v_add3_u32 v1, v15, v13, v1
	v_add3_u32 v4, v19, v16, v4
	ds_write_b8 v0, v3
	ds_write_b8 v1, v6
	;; [unrolled: 1-line block ×3, first 2 shown]
	v_mul_u32_u24_e32 v1, 3, v2
	s_waitcnt lgkmcnt(0)
	s_barrier
	ds_read_u8 v0, v1
	ds_read_u8 v3, v1 offset:1
	ds_read_u8 v4, v1 offset:2
	s_waitcnt lgkmcnt(0)
	s_barrier
	s_and_saveexec_b64 s[12:13], s[0:1]
	s_cbranch_execz .LBB7_19
; %bb.17:
	v_add_u32_e32 v6, 0x200, v5
	s_mov_b64 s[14:15], 0
	v_mov_b32_e32 v7, 0x300
	s_movk_i32 s7, 0x1ff
	v_mov_b32_e32 v8, v2
.LBB7_18:                               ; =>This Inner Loop Header: Depth=1
	v_add_u32_e32 v8, 0x100, v8
	v_cmp_lt_u32_e64 s[8:9], s7, v8
	ds_write2st64_b32 v6, v7, v7 offset1:8
	s_or_b64 s[14:15], s[8:9], s[14:15]
	v_add_u32_e32 v6, 0x400, v6
	s_andn2_b64 exec, exec, s[14:15]
	s_cbranch_execnz .LBB7_18
.LBB7_19:
	s_or_b64 exec, exec, s[12:13]
	v_cmp_ne_u16_sdwa s[12:13], v3, v4 src0_sel:BYTE_0 src1_sel:BYTE_0
	s_waitcnt lgkmcnt(0)
	s_barrier
	ds_write_b8 v2, v4
	s_and_saveexec_b64 s[8:9], s[12:13]
	s_cbranch_execz .LBB7_21
; %bb.20:
	v_mov_b32_e32 v7, 2
	v_add_u32_e32 v6, 2, v1
	v_lshlrev_b32_sdwa v4, v7, v4 dst_sel:DWORD dst_unused:UNUSED_PAD src0_sel:DWORD src1_sel:BYTE_0
	v_lshlrev_b32_sdwa v8, v7, v3 dst_sel:DWORD dst_unused:UNUSED_PAD src0_sel:DWORD src1_sel:BYTE_0
	ds_write_b32 v4, v6 offset:512
	ds_write_b32 v8, v6 offset:2560
.LBB7_21:
	s_or_b64 exec, exec, s[8:9]
	v_and_b32_e32 v4, 0xff, v0
	v_cmp_ne_u16_sdwa s[12:13], v4, v3 src0_sel:DWORD src1_sel:BYTE_0
	s_and_saveexec_b64 s[8:9], s[12:13]
	s_cbranch_execz .LBB7_23
; %bb.22:
	v_mov_b32_e32 v6, 2
	v_add_u32_e32 v4, 1, v1
	v_lshlrev_b32_sdwa v3, v6, v3 dst_sel:DWORD dst_unused:UNUSED_PAD src0_sel:DWORD src1_sel:BYTE_0
	v_lshlrev_b32_sdwa v7, v6, v0 dst_sel:DWORD dst_unused:UNUSED_PAD src0_sel:DWORD src1_sel:BYTE_0
	ds_write_b32 v3, v4 offset:512
	ds_write_b32 v7, v4 offset:2560
.LBB7_23:
	s_or_b64 exec, exec, s[8:9]
	s_waitcnt lgkmcnt(0)
	s_barrier
	s_and_saveexec_b64 s[8:9], s[4:5]
	s_cbranch_execz .LBB7_26
; %bb.24:
	v_add_u32_e32 v3, -1, v2
	ds_read_u8 v4, v3
	s_waitcnt lgkmcnt(0)
	v_cmp_ne_u16_sdwa s[4:5], v4, v0 src0_sel:DWORD src1_sel:BYTE_0
	s_and_b64 exec, exec, s[4:5]
	s_cbranch_execz .LBB7_26
; %bb.25:
	v_mov_b32_e32 v4, 2
	v_lshlrev_b32_sdwa v4, v4, v0 dst_sel:DWORD dst_unused:UNUSED_PAD src0_sel:DWORD src1_sel:BYTE_0
	ds_write_b32 v4, v1 offset:512
	ds_read_u8 v3, v3
	s_waitcnt lgkmcnt(0)
	v_lshlrev_b32_e32 v3, 2, v3
	ds_write_b32 v3, v1 offset:2560
.LBB7_26:
	s_or_b64 exec, exec, s[8:9]
	s_waitcnt lgkmcnt(0)
	s_barrier
	s_and_saveexec_b64 s[4:5], s[2:3]
	s_cbranch_execz .LBB7_28
; %bb.27:
	v_mov_b32_e32 v1, 2
	v_lshlrev_b32_sdwa v0, v1, v0 dst_sel:DWORD dst_unused:UNUSED_PAD src0_sel:DWORD src1_sel:BYTE_0
	v_mov_b32_e32 v1, 0
	ds_write_b32 v0, v1 offset:512
.LBB7_28:
	s_or_b64 exec, exec, s[4:5]
	s_waitcnt lgkmcnt(0)
	s_barrier
	s_and_saveexec_b64 s[2:3], s[0:1]
	s_cbranch_execz .LBB7_30
; %bb.29:
	ds_read2st64_b32 v[0:1], v5 offset0:2 offset1:10
	ds_read_u8 v3, v2 offset:4608
	s_waitcnt lgkmcnt(1)
	v_sub_u32_e32 v0, v1, v0
	s_waitcnt lgkmcnt(0)
	v_add_u16_e32 v0, v3, v0
	ds_write_b8 v2, v0 offset:4608
.LBB7_30:
	s_or_b64 exec, exec, s[2:3]
	s_and_saveexec_b64 s[2:3], vcc
	s_cbranch_execz .LBB7_32
; %bb.31:
	ds_read2st64_b32 v[0:1], v5 offset0:6 offset1:14
	ds_read_u8 v3, v2 offset:4864
	s_waitcnt lgkmcnt(1)
	v_sub_u32_e32 v0, v1, v0
	s_waitcnt lgkmcnt(0)
	v_add_u16_e32 v0, v3, v0
	ds_write_b8 v2, v0 offset:4864
.LBB7_32:
	s_or_b64 exec, exec, s[2:3]
	s_lshl_b32 s4, s6, 9
	v_mov_b32_e32 v0, s4
	s_waitcnt lgkmcnt(0)
	s_barrier
	s_and_saveexec_b64 s[2:3], s[0:1]
	s_cbranch_execnz .LBB7_35
; %bb.33:
	s_or_b64 exec, exec, s[2:3]
	s_and_saveexec_b64 s[0:1], vcc
	s_cbranch_execnz .LBB7_36
.LBB7_34:
	s_endpgm
.LBB7_35:
	ds_read_u8 v0, v2 offset:4608
	s_or_b32 s0, s4, 0x100
	v_or_b32_e32 v1, s4, v2
	s_waitcnt lgkmcnt(0)
	global_store_byte v1, v0, s[10:11]
	v_mov_b32_e32 v0, s0
	s_or_b64 exec, exec, s[2:3]
	s_and_saveexec_b64 s[0:1], vcc
	s_cbranch_execz .LBB7_34
.LBB7_36:
	ds_read_u8 v1, v2 offset:4864
	v_add_u32_e32 v0, v0, v2
	s_waitcnt lgkmcnt(0)
	global_store_byte v0, v1, s[10:11]
	s_endpgm
	.section	.rodata,"a",@progbits
	.p2align	6, 0x0
	.amdhsa_kernel _Z16histogram_kernelILj256ELj3ELj512ELN6hipcub23BlockHistogramAlgorithmE1EhEvPT3_S3_
		.amdhsa_group_segment_fixed_size 5120
		.amdhsa_private_segment_fixed_size 0
		.amdhsa_kernarg_size 272
		.amdhsa_user_sgpr_count 6
		.amdhsa_user_sgpr_private_segment_buffer 1
		.amdhsa_user_sgpr_dispatch_ptr 0
		.amdhsa_user_sgpr_queue_ptr 0
		.amdhsa_user_sgpr_kernarg_segment_ptr 1
		.amdhsa_user_sgpr_dispatch_id 0
		.amdhsa_user_sgpr_flat_scratch_init 0
		.amdhsa_user_sgpr_kernarg_preload_length 0
		.amdhsa_user_sgpr_kernarg_preload_offset 0
		.amdhsa_user_sgpr_private_segment_size 0
		.amdhsa_uses_dynamic_stack 0
		.amdhsa_system_sgpr_private_segment_wavefront_offset 0
		.amdhsa_system_sgpr_workgroup_id_x 1
		.amdhsa_system_sgpr_workgroup_id_y 0
		.amdhsa_system_sgpr_workgroup_id_z 0
		.amdhsa_system_sgpr_workgroup_info 0
		.amdhsa_system_vgpr_workitem_id 2
		.amdhsa_next_free_vgpr 24
		.amdhsa_next_free_sgpr 16
		.amdhsa_accum_offset 24
		.amdhsa_reserve_vcc 1
		.amdhsa_reserve_flat_scratch 0
		.amdhsa_float_round_mode_32 0
		.amdhsa_float_round_mode_16_64 0
		.amdhsa_float_denorm_mode_32 3
		.amdhsa_float_denorm_mode_16_64 3
		.amdhsa_dx10_clamp 1
		.amdhsa_ieee_mode 1
		.amdhsa_fp16_overflow 0
		.amdhsa_tg_split 0
		.amdhsa_exception_fp_ieee_invalid_op 0
		.amdhsa_exception_fp_denorm_src 0
		.amdhsa_exception_fp_ieee_div_zero 0
		.amdhsa_exception_fp_ieee_overflow 0
		.amdhsa_exception_fp_ieee_underflow 0
		.amdhsa_exception_fp_ieee_inexact 0
		.amdhsa_exception_int_div_zero 0
	.end_amdhsa_kernel
	.section	.text._Z16histogram_kernelILj256ELj3ELj512ELN6hipcub23BlockHistogramAlgorithmE1EhEvPT3_S3_,"axG",@progbits,_Z16histogram_kernelILj256ELj3ELj512ELN6hipcub23BlockHistogramAlgorithmE1EhEvPT3_S3_,comdat
.Lfunc_end7:
	.size	_Z16histogram_kernelILj256ELj3ELj512ELN6hipcub23BlockHistogramAlgorithmE1EhEvPT3_S3_, .Lfunc_end7-_Z16histogram_kernelILj256ELj3ELj512ELN6hipcub23BlockHistogramAlgorithmE1EhEvPT3_S3_
                                        ; -- End function
	.section	.AMDGPU.csdata,"",@progbits
; Kernel info:
; codeLenInByte = 2840
; NumSgprs: 20
; NumVgprs: 24
; NumAgprs: 0
; TotalNumVgprs: 24
; ScratchSize: 0
; MemoryBound: 0
; FloatMode: 240
; IeeeMode: 1
; LDSByteSize: 5120 bytes/workgroup (compile time only)
; SGPRBlocks: 2
; VGPRBlocks: 2
; NumSGPRsForWavesPerEU: 20
; NumVGPRsForWavesPerEU: 24
; AccumOffset: 24
; Occupancy: 8
; WaveLimiterHint : 0
; COMPUTE_PGM_RSRC2:SCRATCH_EN: 0
; COMPUTE_PGM_RSRC2:USER_SGPR: 6
; COMPUTE_PGM_RSRC2:TRAP_HANDLER: 0
; COMPUTE_PGM_RSRC2:TGID_X_EN: 1
; COMPUTE_PGM_RSRC2:TGID_Y_EN: 0
; COMPUTE_PGM_RSRC2:TGID_Z_EN: 0
; COMPUTE_PGM_RSRC2:TIDIG_COMP_CNT: 2
; COMPUTE_PGM_RSRC3_GFX90A:ACCUM_OFFSET: 5
; COMPUTE_PGM_RSRC3_GFX90A:TG_SPLIT: 0
	.section	.text._Z16histogram_kernelILj32ELj2ELj64ELN6hipcub23BlockHistogramAlgorithmE1EhEvPT3_S3_,"axG",@progbits,_Z16histogram_kernelILj32ELj2ELj64ELN6hipcub23BlockHistogramAlgorithmE1EhEvPT3_S3_,comdat
	.protected	_Z16histogram_kernelILj32ELj2ELj64ELN6hipcub23BlockHistogramAlgorithmE1EhEvPT3_S3_ ; -- Begin function _Z16histogram_kernelILj32ELj2ELj64ELN6hipcub23BlockHistogramAlgorithmE1EhEvPT3_S3_
	.globl	_Z16histogram_kernelILj32ELj2ELj64ELN6hipcub23BlockHistogramAlgorithmE1EhEvPT3_S3_
	.p2align	8
	.type	_Z16histogram_kernelILj32ELj2ELj64ELN6hipcub23BlockHistogramAlgorithmE1EhEvPT3_S3_,@function
_Z16histogram_kernelILj32ELj2ELj64ELN6hipcub23BlockHistogramAlgorithmE1EhEvPT3_S3_: ; @_Z16histogram_kernelILj32ELj2ELj64ELN6hipcub23BlockHistogramAlgorithmE1EhEvPT3_S3_
; %bb.0:
	s_load_dwordx4 s[16:19], s[4:5], 0x0
	s_lshl_b32 s26, s6, 6
	v_lshlrev_b32_e32 v10, 1, v0
	v_or_b32_e32 v1, s26, v10
	v_cmp_gt_u32_e64 s[0:1], 64, v0
	s_waitcnt lgkmcnt(0)
	global_load_ushort v12, v1, s[16:17]
	s_and_saveexec_b64 s[2:3], s[0:1]
	s_cbranch_execz .LBB8_2
; %bb.1:
	v_mov_b32_e32 v1, 0
	ds_write_b8 v0, v1 offset:1040
.LBB8_2:
	s_or_b64 exec, exec, s[2:3]
	v_cmp_gt_u32_e32 vcc, 32, v0
	s_and_saveexec_b64 s[2:3], vcc
	s_cbranch_execz .LBB8_4
; %bb.3:
	v_mov_b32_e32 v1, 0
	ds_write_b8 v0, v1 offset:1072
.LBB8_4:
	s_or_b64 exec, exec, s[2:3]
	s_movk_i32 s2, 0x100
	v_cmp_gt_u32_e64 s[4:5], s2, v0
	v_or_b32_e32 v1, 32, v0
	s_waitcnt lgkmcnt(0)
	; wave barrier
	s_waitcnt lgkmcnt(0)
	s_and_saveexec_b64 s[2:3], s[4:5]
	s_cbranch_execz .LBB8_11
; %bb.5:
	s_mov_b32 s12, 0
	s_mov_b64 s[6:7], 0
	v_mov_b32_e32 v4, 0
	v_pk_mov_b32 v[2:3], v[0:1], v[0:1] op_sel:[0,1]
	s_branch .LBB8_7
.LBB8_6:                                ;   in Loop: Header=BB8_7 Depth=1
	s_or_b64 exec, exec, s[10:11]
	s_add_i32 s12, s12, 2
	v_cmp_eq_u32_e64 s[8:9], 8, s12
	v_add_u32_e32 v3, 64, v3
	s_or_b64 s[6:7], s[8:9], s[6:7]
	v_add_u32_e32 v2, 64, v2
	s_andn2_b64 exec, exec, s[6:7]
	s_cbranch_execz .LBB8_11
.LBB8_7:                                ; =>This Inner Loop Header: Depth=1
	s_or_b32 s8, s12, 1
	v_cmp_le_u32_e64 s[8:9], s8, 7
	v_cmp_le_u32_e64 s[14:15], s12, 7
	s_and_saveexec_b64 s[10:11], s[14:15]
	s_cbranch_execz .LBB8_9
; %bb.8:                                ;   in Loop: Header=BB8_7 Depth=1
	v_lshlrev_b32_e32 v5, 2, v2
	ds_write_b32 v5, v4
.LBB8_9:                                ;   in Loop: Header=BB8_7 Depth=1
	s_or_b64 exec, exec, s[10:11]
	s_and_saveexec_b64 s[10:11], s[8:9]
	s_cbranch_execz .LBB8_6
; %bb.10:                               ;   in Loop: Header=BB8_7 Depth=1
	v_lshlrev_b32_e32 v5, 2, v3
	ds_write_b32 v5, v4
	s_branch .LBB8_6
.LBB8_11:
	s_or_b64 exec, exec, s[2:3]
	s_waitcnt vmcnt(0)
	v_lshlrev_b32_e32 v2, 5, v12
	s_movk_i32 s2, 0xe0
	v_lshrrev_b32_e32 v3, 2, v12
	v_and_or_b32 v2, v2, s2, v0
	v_and_b32_e32 v3, 2, v3
	v_lshl_or_b32 v16, v2, 2, v3
	ds_read_u16 v14, v16
	v_mbcnt_lo_u32_b32 v2, -1, 0
	v_mbcnt_hi_u32_b32 v19, -1, v2
	v_lshrrev_b16_e32 v15, 8, v12
	v_mov_b32_e32 v3, 5
	s_waitcnt lgkmcnt(0)
	v_add_u16_e32 v2, 1, v14
	ds_write_b16 v16, v2
	v_and_b32_e32 v2, 15, v15
	v_mov_b32_e32 v4, 2
	v_lshlrev_b32_sdwa v3, v3, v2 dst_sel:DWORD dst_unused:UNUSED_PAD src0_sel:DWORD src1_sel:WORD_0
	v_lshrrev_b32_sdwa v2, v4, v2 dst_sel:DWORD dst_unused:UNUSED_PAD src0_sel:DWORD src1_sel:WORD_0
	v_and_or_b32 v3, v3, s2, v0
	v_and_b32_e32 v2, 2, v2
	v_lshl_or_b32 v18, v3, 2, v2
	ds_read_u16 v17, v18
	v_and_b32_e32 v2, 16, v19
	v_lshlrev_b32_e32 v11, 5, v0
	v_cmp_eq_u32_e64 s[2:3], 0, v2
	v_and_b32_e32 v13, 15, v19
	s_waitcnt lgkmcnt(0)
	v_add_u16_e32 v2, 1, v17
	ds_write_b16 v18, v2
	s_waitcnt lgkmcnt(0)
	; wave barrier
	s_waitcnt lgkmcnt(0)
	ds_read2_b32 v[8:9], v11 offset1:1
	ds_read2_b32 v[6:7], v11 offset0:2 offset1:3
	ds_read2_b32 v[2:3], v11 offset0:4 offset1:5
	;; [unrolled: 1-line block ×3, first 2 shown]
	v_cmp_eq_u32_e64 s[8:9], 0, v13
	s_waitcnt lgkmcnt(3)
	v_add_u32_e32 v21, v9, v8
	s_waitcnt lgkmcnt(2)
	v_add3_u32 v21, v21, v6, v7
	s_waitcnt lgkmcnt(1)
	v_add3_u32 v21, v21, v2, v3
	s_waitcnt lgkmcnt(0)
	v_add3_u32 v5, v21, v4, v5
	v_cmp_lt_u32_e64 s[10:11], 1, v13
	v_cmp_lt_u32_e64 s[12:13], 3, v13
	v_mov_b32_dpp v21, v5 row_shr:1 row_mask:0xf bank_mask:0xf
	v_cndmask_b32_e64 v21, v21, 0, s[8:9]
	v_add_u32_e32 v5, v21, v5
	v_cmp_lt_u32_e64 s[14:15], 7, v13
	v_bfe_i32 v20, v19, 4, 1
	v_mov_b32_dpp v21, v5 row_shr:2 row_mask:0xf bank_mask:0xf
	v_cndmask_b32_e64 v21, 0, v21, s[10:11]
	v_add_u32_e32 v5, v5, v21
	v_cmp_eq_u32_e64 s[6:7], 31, v0
	s_nop 0
	v_mov_b32_dpp v21, v5 row_shr:4 row_mask:0xf bank_mask:0xf
	v_cndmask_b32_e64 v21, 0, v21, s[12:13]
	v_add_u32_e32 v5, v5, v21
	s_nop 1
	v_mov_b32_dpp v21, v5 row_shr:8 row_mask:0xf bank_mask:0xf
	v_cndmask_b32_e64 v13, 0, v21, s[14:15]
	v_add_u32_e32 v5, v5, v13
	s_nop 1
	v_mov_b32_dpp v13, v5 row_bcast:15 row_mask:0xf bank_mask:0xf
	v_and_b32_e32 v13, v20, v13
	v_add_u32_e32 v5, v5, v13
	s_and_saveexec_b64 s[16:17], s[6:7]
	s_cbranch_execz .LBB8_13
; %bb.12:
	v_mov_b32_e32 v13, 0
	ds_write_b32 v13, v5 offset:1024
.LBB8_13:
	s_or_b64 exec, exec, s[16:17]
	v_add_u32_e32 v13, -1, v19
	v_and_b32_e32 v20, 0x60, v19
	v_cmp_lt_i32_e64 s[16:17], v13, v20
	v_cndmask_b32_e64 v13, v13, v19, s[16:17]
	v_lshlrev_b32_e32 v13, 2, v13
	ds_bpermute_b32 v20, v13, v5
	v_mov_b32_e32 v5, 0
	s_waitcnt lgkmcnt(0)
	; wave barrier
	s_waitcnt lgkmcnt(0)
	ds_read_b32 v21, v5 offset:1024
	v_cmp_eq_u32_e64 s[16:17], 0, v19
	v_cndmask_b32_e64 v19, v20, 0, s[16:17]
	s_waitcnt lgkmcnt(0)
	v_lshl_add_u32 v19, v21, 16, v19
	v_add_u32_e32 v8, v19, v8
	v_add_u32_e32 v9, v8, v9
	;; [unrolled: 1-line block ×7, first 2 shown]
	ds_write2_b32 v11, v19, v8 offset1:1
	ds_write2_b32 v11, v9, v6 offset0:2 offset1:3
	ds_write2_b32 v11, v7, v2 offset0:4 offset1:5
	;; [unrolled: 1-line block ×3, first 2 shown]
	s_waitcnt lgkmcnt(0)
	; wave barrier
	s_waitcnt lgkmcnt(0)
	ds_read_u16 v2, v16
	ds_read_u16 v3, v18
	s_waitcnt lgkmcnt(0)
	; wave barrier
	s_waitcnt lgkmcnt(0)
	v_add_u32_sdwa v2, v2, v14 dst_sel:DWORD dst_unused:UNUSED_PAD src0_sel:DWORD src1_sel:WORD_0
	ds_write_b8 v2, v12
	v_add_u32_sdwa v2, v3, v17 dst_sel:DWORD dst_unused:UNUSED_PAD src0_sel:DWORD src1_sel:WORD_0
	ds_write_b8 v2, v15
	s_waitcnt lgkmcnt(0)
	; wave barrier
	s_waitcnt lgkmcnt(0)
	ds_read_u8 v14, v10
	ds_read_u8 v12, v10 offset:1
	s_waitcnt lgkmcnt(0)
	; wave barrier
	s_waitcnt lgkmcnt(0)
	s_and_saveexec_b64 s[20:21], s[4:5]
	s_cbranch_execz .LBB8_20
; %bb.14:
	s_mov_b32 s27, 0
	s_mov_b64 s[4:5], 0
	v_pk_mov_b32 v[2:3], v[0:1], v[0:1] op_sel:[0,1]
	s_branch .LBB8_16
.LBB8_15:                               ;   in Loop: Header=BB8_16 Depth=1
	s_or_b64 exec, exec, s[24:25]
	s_add_i32 s27, s27, 2
	v_cmp_eq_u32_e64 s[22:23], 8, s27
	v_add_u32_e32 v3, 64, v3
	s_or_b64 s[4:5], s[22:23], s[4:5]
	v_add_u32_e32 v2, 64, v2
	s_andn2_b64 exec, exec, s[4:5]
	s_cbranch_execz .LBB8_20
.LBB8_16:                               ; =>This Inner Loop Header: Depth=1
	s_or_b32 s22, s27, 1
	v_cmp_le_u32_e64 s[22:23], s22, 7
	v_cmp_le_u32_e64 s[28:29], s27, 7
	s_and_saveexec_b64 s[24:25], s[28:29]
	s_cbranch_execz .LBB8_18
; %bb.17:                               ;   in Loop: Header=BB8_16 Depth=1
	v_lshlrev_b32_e32 v1, 2, v2
	ds_write_b32 v1, v5
.LBB8_18:                               ;   in Loop: Header=BB8_16 Depth=1
	s_or_b64 exec, exec, s[24:25]
	s_and_saveexec_b64 s[24:25], s[22:23]
	s_cbranch_execz .LBB8_15
; %bb.19:                               ;   in Loop: Header=BB8_16 Depth=1
	v_lshlrev_b32_e32 v1, 2, v3
	ds_write_b32 v1, v5
	s_branch .LBB8_15
.LBB8_20:
	s_or_b64 exec, exec, s[20:21]
	v_lshrrev_b16_e32 v1, 4, v14
	v_and_b32_e32 v1, 15, v1
	v_mov_b32_e32 v2, 5
	v_mov_b32_e32 v4, 2
	v_lshlrev_b32_sdwa v3, v2, v1 dst_sel:DWORD dst_unused:UNUSED_PAD src0_sel:DWORD src1_sel:WORD_0
	s_movk_i32 s4, 0xe0
	v_lshrrev_b32_sdwa v1, v4, v1 dst_sel:DWORD dst_unused:UNUSED_PAD src0_sel:DWORD src1_sel:WORD_0
	v_and_or_b32 v3, v3, s4, v0
	v_and_b32_e32 v1, 2, v1
	v_lshl_or_b32 v15, v3, 2, v1
	ds_read_u16 v1, v15
	s_waitcnt lgkmcnt(0)
	v_add_u16_e32 v3, 1, v1
	ds_write_b16 v15, v3
	v_lshrrev_b16_e32 v3, 4, v12
	v_and_b32_e32 v3, 15, v3
	v_lshlrev_b32_sdwa v2, v2, v3 dst_sel:DWORD dst_unused:UNUSED_PAD src0_sel:DWORD src1_sel:WORD_0
	v_lshrrev_b32_sdwa v3, v4, v3 dst_sel:DWORD dst_unused:UNUSED_PAD src0_sel:DWORD src1_sel:WORD_0
	v_and_or_b32 v2, v2, s4, v0
	v_and_b32_e32 v3, 2, v3
	v_lshl_or_b32 v17, v2, 2, v3
	ds_read_u16 v16, v17
	s_waitcnt lgkmcnt(0)
	v_add_u16_e32 v2, 1, v16
	ds_write_b16 v17, v2
	s_waitcnt lgkmcnt(0)
	; wave barrier
	s_waitcnt lgkmcnt(0)
	ds_read2_b32 v[8:9], v11 offset1:1
	ds_read2_b32 v[6:7], v11 offset0:2 offset1:3
	ds_read2_b32 v[2:3], v11 offset0:4 offset1:5
	;; [unrolled: 1-line block ×3, first 2 shown]
	s_waitcnt lgkmcnt(3)
	v_add_u32_e32 v18, v9, v8
	s_waitcnt lgkmcnt(2)
	v_add3_u32 v18, v18, v6, v7
	s_waitcnt lgkmcnt(1)
	v_add3_u32 v18, v18, v2, v3
	;; [unrolled: 2-line block ×3, first 2 shown]
	s_nop 1
	v_mov_b32_dpp v18, v5 row_shr:1 row_mask:0xf bank_mask:0xf
	v_cndmask_b32_e64 v18, v18, 0, s[8:9]
	v_add_u32_e32 v5, v18, v5
	s_nop 1
	v_mov_b32_dpp v18, v5 row_shr:2 row_mask:0xf bank_mask:0xf
	v_cndmask_b32_e64 v18, 0, v18, s[10:11]
	v_add_u32_e32 v5, v5, v18
	;; [unrolled: 4-line block ×4, first 2 shown]
	s_nop 1
	v_mov_b32_dpp v18, v5 row_bcast:15 row_mask:0xf bank_mask:0xf
	v_cndmask_b32_e64 v18, v18, 0, s[2:3]
	v_add_u32_e32 v5, v5, v18
	s_and_saveexec_b64 s[2:3], s[6:7]
	s_cbranch_execz .LBB8_22
; %bb.21:
	v_mov_b32_e32 v18, 0
	ds_write_b32 v18, v5 offset:1024
.LBB8_22:
	s_or_b64 exec, exec, s[2:3]
	ds_bpermute_b32 v5, v13, v5
	v_mov_b32_e32 v13, 0
	s_waitcnt lgkmcnt(0)
	; wave barrier
	s_waitcnt lgkmcnt(0)
	ds_read_b32 v13, v13 offset:1024
	v_cndmask_b32_e64 v5, v5, 0, s[16:17]
	s_waitcnt lgkmcnt(0)
	v_lshl_add_u32 v5, v13, 16, v5
	v_add_u32_e32 v8, v5, v8
	v_add_u32_e32 v9, v8, v9
	;; [unrolled: 1-line block ×7, first 2 shown]
	ds_write2_b32 v11, v5, v8 offset1:1
	ds_write2_b32 v11, v9, v6 offset0:2 offset1:3
	ds_write2_b32 v11, v7, v2 offset0:4 offset1:5
	ds_write2_b32 v11, v3, v4 offset0:6 offset1:7
	s_waitcnt lgkmcnt(0)
	; wave barrier
	s_waitcnt lgkmcnt(0)
	ds_read_u16 v2, v15
	ds_read_u16 v3, v17
	s_waitcnt lgkmcnt(0)
	; wave barrier
	s_waitcnt lgkmcnt(0)
	v_add_u32_sdwa v1, v2, v1 dst_sel:DWORD dst_unused:UNUSED_PAD src0_sel:DWORD src1_sel:WORD_0
	ds_write_b8 v1, v14
	v_add_u32_sdwa v1, v3, v16 dst_sel:DWORD dst_unused:UNUSED_PAD src0_sel:DWORD src1_sel:WORD_0
	ds_write_b8 v1, v12
	s_waitcnt lgkmcnt(0)
	; wave barrier
	s_waitcnt lgkmcnt(0)
	ds_read_u8 v1, v10
	ds_read_u8 v2, v10 offset:1
	s_waitcnt lgkmcnt(0)
	; wave barrier
	s_waitcnt lgkmcnt(0)
	s_and_saveexec_b64 s[4:5], s[0:1]
	s_cbranch_execz .LBB8_25
; %bb.23:
	v_lshl_add_u32 v3, v0, 2, 64
	s_mov_b64 s[6:7], 0
	v_mov_b32_e32 v4, 64
	v_mov_b32_e32 v5, v0
.LBB8_24:                               ; =>This Inner Loop Header: Depth=1
	v_add_u32_e32 v5, 32, v5
	v_cmp_lt_u32_e64 s[2:3], 63, v5
	ds_write2st64_b32 v3, v4, v4 offset1:1
	s_or_b64 s[6:7], s[2:3], s[6:7]
	v_add_u32_e32 v3, 0x80, v3
	s_andn2_b64 exec, exec, s[6:7]
	s_cbranch_execnz .LBB8_24
.LBB8_25:
	s_or_b64 exec, exec, s[4:5]
	v_cmp_ne_u16_sdwa s[4:5], v1, v2 src0_sel:BYTE_0 src1_sel:BYTE_0
	s_waitcnt lgkmcnt(0)
	; wave barrier
	s_waitcnt lgkmcnt(0)
	ds_write_b8 v0, v2
	s_and_saveexec_b64 s[2:3], s[4:5]
	s_cbranch_execz .LBB8_27
; %bb.26:
	v_mov_b32_e32 v4, 2
	v_or_b32_e32 v3, 1, v10
	v_lshlrev_b32_sdwa v2, v4, v2 dst_sel:DWORD dst_unused:UNUSED_PAD src0_sel:DWORD src1_sel:BYTE_0
	v_lshlrev_b32_sdwa v5, v4, v1 dst_sel:DWORD dst_unused:UNUSED_PAD src0_sel:DWORD src1_sel:BYTE_0
	ds_write_b32 v2, v3 offset:64
	ds_write_b32 v5, v3 offset:320
.LBB8_27:
	s_or_b64 exec, exec, s[2:3]
	v_cmp_eq_u32_e64 s[2:3], 0, v0
	v_cmp_ne_u32_e64 s[4:5], 0, v0
	s_waitcnt lgkmcnt(0)
	; wave barrier
	s_waitcnt lgkmcnt(0)
	s_and_saveexec_b64 s[6:7], s[4:5]
	s_cbranch_execz .LBB8_30
; %bb.28:
	v_add_u32_e32 v2, -1, v0
	ds_read_u8 v3, v2
	s_waitcnt lgkmcnt(0)
	v_cmp_ne_u16_sdwa s[4:5], v3, v1 src0_sel:DWORD src1_sel:BYTE_0
	s_and_b64 exec, exec, s[4:5]
	s_cbranch_execz .LBB8_30
; %bb.29:
	v_mov_b32_e32 v3, 2
	v_lshlrev_b32_sdwa v3, v3, v1 dst_sel:DWORD dst_unused:UNUSED_PAD src0_sel:DWORD src1_sel:BYTE_0
	ds_write_b32 v3, v10 offset:64
	ds_read_u8 v2, v2
	s_waitcnt lgkmcnt(0)
	v_lshlrev_b32_e32 v2, 2, v2
	ds_write_b32 v2, v10 offset:320
.LBB8_30:
	s_or_b64 exec, exec, s[6:7]
	s_waitcnt lgkmcnt(0)
	; wave barrier
	s_waitcnt lgkmcnt(0)
	s_and_saveexec_b64 s[4:5], s[2:3]
	s_cbranch_execz .LBB8_32
; %bb.31:
	v_mov_b32_e32 v2, 2
	v_lshlrev_b32_sdwa v1, v2, v1 dst_sel:DWORD dst_unused:UNUSED_PAD src0_sel:DWORD src1_sel:BYTE_0
	v_mov_b32_e32 v2, 0
	ds_write_b32 v1, v2 offset:64
.LBB8_32:
	s_or_b64 exec, exec, s[4:5]
	v_lshlrev_b32_e32 v1, 2, v0
	s_waitcnt lgkmcnt(0)
	; wave barrier
	s_waitcnt lgkmcnt(0)
	s_and_saveexec_b64 s[2:3], s[0:1]
	s_cbranch_execz .LBB8_34
; %bb.33:
	ds_read2_b32 v[2:3], v1 offset0:16 offset1:80
	ds_read_u8 v4, v0 offset:1040
	s_waitcnt lgkmcnt(1)
	v_sub_u32_e32 v2, v3, v2
	s_waitcnt lgkmcnt(0)
	v_add_u16_e32 v2, v4, v2
	ds_write_b8 v0, v2 offset:1040
.LBB8_34:
	s_or_b64 exec, exec, s[2:3]
	s_and_saveexec_b64 s[2:3], vcc
	s_cbranch_execz .LBB8_36
; %bb.35:
	ds_read2_b32 v[2:3], v1 offset0:48 offset1:112
	ds_read_u8 v1, v0 offset:1072
	s_waitcnt lgkmcnt(1)
	v_sub_u32_e32 v2, v3, v2
	s_waitcnt lgkmcnt(0)
	v_add_u16_e32 v1, v1, v2
	ds_write_b8 v0, v1 offset:1072
.LBB8_36:
	s_or_b64 exec, exec, s[2:3]
	v_mov_b32_e32 v1, s26
	s_waitcnt lgkmcnt(0)
	; wave barrier
	s_waitcnt lgkmcnt(0)
	s_and_saveexec_b64 s[2:3], s[0:1]
	s_cbranch_execnz .LBB8_39
; %bb.37:
	s_or_b64 exec, exec, s[2:3]
	s_and_saveexec_b64 s[0:1], vcc
	s_cbranch_execnz .LBB8_40
.LBB8_38:
	s_endpgm
.LBB8_39:
	ds_read_u8 v1, v0 offset:1040
	s_or_b32 s0, s26, 32
	v_or_b32_e32 v2, s26, v0
	s_waitcnt lgkmcnt(0)
	global_store_byte v2, v1, s[18:19]
	v_mov_b32_e32 v1, s0
	s_or_b64 exec, exec, s[2:3]
	s_and_saveexec_b64 s[0:1], vcc
	s_cbranch_execz .LBB8_38
.LBB8_40:
	ds_read_u8 v2, v0 offset:1072
	v_add_u32_e32 v0, v1, v0
	s_waitcnt lgkmcnt(0)
	global_store_byte v0, v2, s[18:19]
	s_endpgm
	.section	.rodata,"a",@progbits
	.p2align	6, 0x0
	.amdhsa_kernel _Z16histogram_kernelILj32ELj2ELj64ELN6hipcub23BlockHistogramAlgorithmE1EhEvPT3_S3_
		.amdhsa_group_segment_fixed_size 1104
		.amdhsa_private_segment_fixed_size 0
		.amdhsa_kernarg_size 16
		.amdhsa_user_sgpr_count 6
		.amdhsa_user_sgpr_private_segment_buffer 1
		.amdhsa_user_sgpr_dispatch_ptr 0
		.amdhsa_user_sgpr_queue_ptr 0
		.amdhsa_user_sgpr_kernarg_segment_ptr 1
		.amdhsa_user_sgpr_dispatch_id 0
		.amdhsa_user_sgpr_flat_scratch_init 0
		.amdhsa_user_sgpr_kernarg_preload_length 0
		.amdhsa_user_sgpr_kernarg_preload_offset 0
		.amdhsa_user_sgpr_private_segment_size 0
		.amdhsa_uses_dynamic_stack 0
		.amdhsa_system_sgpr_private_segment_wavefront_offset 0
		.amdhsa_system_sgpr_workgroup_id_x 1
		.amdhsa_system_sgpr_workgroup_id_y 0
		.amdhsa_system_sgpr_workgroup_id_z 0
		.amdhsa_system_sgpr_workgroup_info 0
		.amdhsa_system_vgpr_workitem_id 0
		.amdhsa_next_free_vgpr 22
		.amdhsa_next_free_sgpr 30
		.amdhsa_accum_offset 24
		.amdhsa_reserve_vcc 1
		.amdhsa_reserve_flat_scratch 0
		.amdhsa_float_round_mode_32 0
		.amdhsa_float_round_mode_16_64 0
		.amdhsa_float_denorm_mode_32 3
		.amdhsa_float_denorm_mode_16_64 3
		.amdhsa_dx10_clamp 1
		.amdhsa_ieee_mode 1
		.amdhsa_fp16_overflow 0
		.amdhsa_tg_split 0
		.amdhsa_exception_fp_ieee_invalid_op 0
		.amdhsa_exception_fp_denorm_src 0
		.amdhsa_exception_fp_ieee_div_zero 0
		.amdhsa_exception_fp_ieee_overflow 0
		.amdhsa_exception_fp_ieee_underflow 0
		.amdhsa_exception_fp_ieee_inexact 0
		.amdhsa_exception_int_div_zero 0
	.end_amdhsa_kernel
	.section	.text._Z16histogram_kernelILj32ELj2ELj64ELN6hipcub23BlockHistogramAlgorithmE1EhEvPT3_S3_,"axG",@progbits,_Z16histogram_kernelILj32ELj2ELj64ELN6hipcub23BlockHistogramAlgorithmE1EhEvPT3_S3_,comdat
.Lfunc_end8:
	.size	_Z16histogram_kernelILj32ELj2ELj64ELN6hipcub23BlockHistogramAlgorithmE1EhEvPT3_S3_, .Lfunc_end8-_Z16histogram_kernelILj32ELj2ELj64ELN6hipcub23BlockHistogramAlgorithmE1EhEvPT3_S3_
                                        ; -- End function
	.section	.AMDGPU.csdata,"",@progbits
; Kernel info:
; codeLenInByte = 2180
; NumSgprs: 34
; NumVgprs: 22
; NumAgprs: 0
; TotalNumVgprs: 22
; ScratchSize: 0
; MemoryBound: 0
; FloatMode: 240
; IeeeMode: 1
; LDSByteSize: 1104 bytes/workgroup (compile time only)
; SGPRBlocks: 4
; VGPRBlocks: 2
; NumSGPRsForWavesPerEU: 34
; NumVGPRsForWavesPerEU: 22
; AccumOffset: 24
; Occupancy: 8
; WaveLimiterHint : 0
; COMPUTE_PGM_RSRC2:SCRATCH_EN: 0
; COMPUTE_PGM_RSRC2:USER_SGPR: 6
; COMPUTE_PGM_RSRC2:TRAP_HANDLER: 0
; COMPUTE_PGM_RSRC2:TGID_X_EN: 1
; COMPUTE_PGM_RSRC2:TGID_Y_EN: 0
; COMPUTE_PGM_RSRC2:TGID_Z_EN: 0
; COMPUTE_PGM_RSRC2:TIDIG_COMP_CNT: 0
; COMPUTE_PGM_RSRC3_GFX90A:ACCUM_OFFSET: 5
; COMPUTE_PGM_RSRC3_GFX90A:TG_SPLIT: 0
	.section	.text._Z16histogram_kernelILj6ELj32ELj18ELN6hipcub23BlockHistogramAlgorithmE1EhEvPT3_S3_,"axG",@progbits,_Z16histogram_kernelILj6ELj32ELj18ELN6hipcub23BlockHistogramAlgorithmE1EhEvPT3_S3_,comdat
	.protected	_Z16histogram_kernelILj6ELj32ELj18ELN6hipcub23BlockHistogramAlgorithmE1EhEvPT3_S3_ ; -- Begin function _Z16histogram_kernelILj6ELj32ELj18ELN6hipcub23BlockHistogramAlgorithmE1EhEvPT3_S3_
	.globl	_Z16histogram_kernelILj6ELj32ELj18ELN6hipcub23BlockHistogramAlgorithmE1EhEvPT3_S3_
	.p2align	8
	.type	_Z16histogram_kernelILj6ELj32ELj18ELN6hipcub23BlockHistogramAlgorithmE1EhEvPT3_S3_,@function
_Z16histogram_kernelILj6ELj32ELj18ELN6hipcub23BlockHistogramAlgorithmE1EhEvPT3_S3_: ; @_Z16histogram_kernelILj6ELj32ELj18ELN6hipcub23BlockHistogramAlgorithmE1EhEvPT3_S3_
; %bb.0:
	s_load_dwordx4 s[20:23], s[4:5], 0x0
	s_mul_i32 s0, s6, 6
	v_add_lshl_u32 v1, s0, v0, 5
	v_cmp_gt_u32_e64 s[4:5], 18, v0
	s_waitcnt lgkmcnt(0)
	global_load_dwordx4 v[2:5], v1, s[20:21]
	global_load_dwordx4 v[6:9], v1, s[20:21] offset:16
	s_and_saveexec_b64 s[0:1], s[4:5]
	s_cbranch_execnz .LBB9_95
; %bb.1:
	s_or_b64 exec, exec, s[0:1]
	v_cmp_gt_u32_e64 s[2:3], 12, v0
	s_and_saveexec_b64 s[0:1], s[2:3]
	s_cbranch_execnz .LBB9_96
.LBB9_2:
	s_or_b64 exec, exec, s[0:1]
	v_cmp_gt_u32_e64 s[0:1], 6, v0
	s_and_saveexec_b64 s[8:9], s[0:1]
	s_cbranch_execz .LBB9_4
.LBB9_3:
	v_mov_b32_e32 v1, 0
	ds_write_b8 v0, v1 offset:220
.LBB9_4:
	s_or_b64 exec, exec, s[8:9]
	v_mbcnt_lo_u32_b32 v1, -1, 0
	v_mbcnt_hi_u32_b32 v1, -1, v1
	v_and_b32_e32 v10, 7, v1
	v_cmp_eq_u32_e64 s[8:9], 0, v10
	v_cmp_lt_u32_e64 s[10:11], 1, v10
	v_cmp_lt_u32_e64 s[12:13], 3, v10
	v_add_u32_e32 v10, -1, v1
	v_and_b32_e32 v11, 0x78, v1
	v_cmp_lt_i32_e32 vcc, v10, v11
	v_cndmask_b32_e32 v10, v10, v1, vcc
	v_cmp_gt_u32_e32 vcc, 42, v0
	v_cmp_eq_u32_e64 s[16:17], 0, v1
	v_subb_co_u32_e64 v1, s[20:21], 42, v0, vcc
	s_mov_b32 s20, 0x2aaaaaab
	s_waitcnt vmcnt(1)
	v_lshrrev_b64 v[14:15], 24, v[4:5]
	v_mul_hi_u32 v1, v1, s20
	s_waitcnt vmcnt(0)
	v_lshrrev_b64 v[16:17], 24, v[6:7]
	v_lshlrev_b32_e32 v15, 2, v10
	v_addc_co_u32_e32 v10, vcc, 0, v1, vcc
	v_lshrrev_b64 v[12:13], 24, v[2:3]
	v_lshrrev_b64 v[18:19], 24, v[8:9]
	v_and_b32_e32 v17, 14, v10
	v_lshrrev_b32_e32 v95, 8, v2
	v_lshrrev_b32_e32 v104, 16, v2
	;; [unrolled: 1-line block ×20, first 2 shown]
	v_cmp_gt_u32_e64 s[18:19], 48, v0
	v_lshlrev_b32_e32 v13, 5, v0
	s_mov_b32 s7, 0
	v_cmp_eq_u32_e64 s[14:15], 5, v0
	v_add_u32_e32 v1, 6, v0
	v_mov_b32_e32 v11, v10
	v_add_u32_e32 v17, 2, v17
	s_mov_b64 s[24:25], -1
	v_mov_b32_e32 v19, 0
	s_waitcnt lgkmcnt(0)
	; wave barrier
	s_waitcnt lgkmcnt(0)
	s_branch .LBB9_6
.LBB9_5:                                ;   in Loop: Header=BB9_6 Depth=1
	v_add_u32_sdwa v2, v94, v52 dst_sel:DWORD dst_unused:UNUSED_PAD src0_sel:DWORD src1_sel:WORD_0
	; wave barrier
	ds_write_b8 v2, v51
	v_add_u32_sdwa v2, v93, v53 dst_sel:DWORD dst_unused:UNUSED_PAD src0_sel:DWORD src1_sel:WORD_0
	ds_write_b8 v2, v50
	v_add_u32_sdwa v2, v92, v54 dst_sel:DWORD dst_unused:UNUSED_PAD src0_sel:DWORD src1_sel:WORD_0
	;; [unrolled: 2-line block ×18, first 2 shown]
	ds_write_b8 v2, v33
	ds_write_b8 v79, v32
	;; [unrolled: 1-line block ×14, first 2 shown]
	s_waitcnt lgkmcnt(0)
	; wave barrier
	s_waitcnt lgkmcnt(0)
	ds_read_b128 v[2:5], v13
	ds_read_b128 v[6:9], v13 offset:16
	s_mov_b64 s[24:25], 0
	s_mov_b32 s7, 4
	s_waitcnt lgkmcnt(0)
	v_lshrrev_b32_e32 v95, 8, v2
	v_lshrrev_b32_e32 v104, 16, v2
	;; [unrolled: 1-line block ×24, first 2 shown]
	; wave barrier
	s_cbranch_execz .LBB9_17
.LBB9_6:                                ; =>This Loop Header: Depth=1
                                        ;     Child Loop BB9_9 Depth 2
	v_mov_b32_e32 v51, v2
	v_mov_b32_e32 v50, v95
	;; [unrolled: 1-line block ×32, first 2 shown]
	s_and_saveexec_b64 s[26:27], s[18:19]
	s_cbranch_execz .LBB9_13
; %bb.7:                                ;   in Loop: Header=BB9_6 Depth=1
	s_mov_b32 s33, 0
	s_mov_b64 s[28:29], 0
	v_pk_mov_b32 v[2:3], v[0:1], v[0:1] op_sel:[0,1]
	s_branch .LBB9_9
.LBB9_8:                                ;   in Loop: Header=BB9_9 Depth=2
	s_or_b64 exec, exec, s[20:21]
	s_add_i32 s33, s33, 2
	v_cmp_eq_u32_e32 vcc, s33, v17
	v_add_u32_e32 v3, 12, v3
	s_or_b64 s[28:29], vcc, s[28:29]
	v_add_u32_e32 v2, 12, v2
	s_andn2_b64 exec, exec, s[28:29]
	s_cbranch_execz .LBB9_13
.LBB9_9:                                ;   Parent Loop BB9_6 Depth=1
                                        ; =>  This Inner Loop Header: Depth=2
	s_or_b32 s20, s33, 1
	v_cmp_le_u32_e32 vcc, s20, v11
	v_cmp_le_u32_e64 s[20:21], s33, v10
	s_and_saveexec_b64 s[30:31], s[20:21]
	s_cbranch_execz .LBB9_11
; %bb.10:                               ;   in Loop: Header=BB9_9 Depth=2
	v_lshlrev_b32_e32 v4, 2, v2
	ds_write_b32 v4, v19
.LBB9_11:                               ;   in Loop: Header=BB9_9 Depth=2
	s_or_b64 exec, exec, s[30:31]
	s_and_saveexec_b64 s[20:21], vcc
	s_cbranch_execz .LBB9_8
; %bb.12:                               ;   in Loop: Header=BB9_9 Depth=2
	v_lshlrev_b32_e32 v4, 2, v3
	ds_write_b32 v4, v19
	s_branch .LBB9_8
.LBB9_13:                               ;   in Loop: Header=BB9_6 Depth=1
	s_or_b64 exec, exec, s[26:27]
	v_and_b32_e32 v2, 0xff, v51
	v_lshrrev_b32_e32 v3, s7, v2
	v_bfe_u32 v2, v2, s7, 3
	v_lshrrev_b32_e32 v3, 2, v3
	v_mad_u32_u24 v2, v2, 6, v0
	v_and_b32_e32 v3, 2, v3
	v_lshl_or_b32 v12, v2, 2, v3
	ds_read_u16 v52, v12
	v_and_b32_e32 v2, 0xff, v50
	v_lshrrev_b32_e32 v3, s7, v2
	v_bfe_u32 v2, v2, s7, 3
	v_lshrrev_b32_e32 v3, 2, v3
	s_waitcnt lgkmcnt(0)
	v_add_u16_e32 v4, 1, v52
	v_mad_u32_u24 v2, v2, 6, v0
	v_and_b32_e32 v3, 2, v3
	ds_write_b16 v12, v4
	v_lshl_or_b32 v14, v2, 2, v3
	ds_read_u16 v53, v14
	s_waitcnt lgkmcnt(0)
	v_add_u16_e32 v2, 1, v53
	ds_write_b16 v14, v2
	v_and_b32_e32 v2, 0xff, v49
	v_lshrrev_b32_e32 v3, s7, v2
	v_bfe_u32 v2, v2, s7, 3
	v_lshrrev_b32_e32 v3, 2, v3
	v_mad_u32_u24 v2, v2, 6, v0
	v_and_b32_e32 v3, 2, v3
	v_lshl_or_b32 v16, v2, 2, v3
	ds_read_u16 v54, v16
	s_waitcnt lgkmcnt(0)
	v_add_u16_e32 v2, 1, v54
	ds_write_b16 v16, v2
	v_and_b32_e32 v2, 0xff, v48
	v_lshrrev_b32_e32 v3, s7, v2
	v_bfe_u32 v2, v2, s7, 3
	v_lshrrev_b32_e32 v3, 2, v3
	v_mad_u32_u24 v2, v2, 6, v0
	v_and_b32_e32 v3, 2, v3
	;; [unrolled: 11-line block ×30, first 2 shown]
	v_lshl_or_b32 v122, v2, 2, v3
	ds_read_u16 v121, v122
	s_waitcnt lgkmcnt(0)
	v_add_u16_e32 v2, 1, v121
	ds_write_b16 v122, v2
	s_waitcnt lgkmcnt(0)
	; wave barrier
	s_waitcnt lgkmcnt(0)
	ds_read2_b32 v[8:9], v13 offset1:1
	ds_read2_b32 v[2:3], v13 offset0:2 offset1:3
	ds_read2_b32 v[4:5], v13 offset0:4 offset1:5
	ds_read2_b32 v[6:7], v13 offset0:6 offset1:7
	s_waitcnt lgkmcnt(3)
	v_add_u32_e32 v84, v9, v8
	s_waitcnt lgkmcnt(2)
	v_add3_u32 v84, v84, v2, v3
	s_waitcnt lgkmcnt(1)
	v_add3_u32 v84, v84, v4, v5
	;; [unrolled: 2-line block ×3, first 2 shown]
	s_nop 1
	v_mov_b32_dpp v84, v7 row_shr:1 row_mask:0xf bank_mask:0xf
	v_cndmask_b32_e64 v84, v84, 0, s[8:9]
	v_add_u32_e32 v7, v84, v7
	s_nop 1
	v_mov_b32_dpp v84, v7 row_shr:2 row_mask:0xf bank_mask:0xf
	v_cndmask_b32_e64 v84, 0, v84, s[10:11]
	v_add_u32_e32 v7, v7, v84
	s_nop 1
	v_mov_b32_dpp v84, v7 row_shr:4 row_mask:0xf bank_mask:0xf
	v_cndmask_b32_e64 v84, 0, v84, s[12:13]
	v_add_u32_e32 v7, v7, v84
	s_and_saveexec_b64 s[20:21], s[14:15]
	s_cbranch_execz .LBB9_15
; %bb.14:                               ;   in Loop: Header=BB9_6 Depth=1
	ds_write_b32 v19, v7 offset:192
.LBB9_15:                               ;   in Loop: Header=BB9_6 Depth=1
	s_or_b64 exec, exec, s[20:21]
	ds_bpermute_b32 v7, v15, v7
	s_waitcnt lgkmcnt(0)
	; wave barrier
	s_waitcnt lgkmcnt(0)
	ds_read_b32 v84, v19 offset:192
	s_andn2_b64 vcc, exec, s[24:25]
	v_cndmask_b32_e64 v7, v7, 0, s[16:17]
	s_waitcnt lgkmcnt(0)
	v_lshl_add_u32 v7, v84, 16, v7
	v_add_u32_e32 v8, v7, v8
	v_add_u32_e32 v9, v8, v9
	;; [unrolled: 1-line block ×7, first 2 shown]
	ds_write2_b32 v13, v7, v8 offset1:1
	ds_write2_b32 v13, v9, v2 offset0:2 offset1:3
	ds_write2_b32 v13, v3, v4 offset0:4 offset1:5
	;; [unrolled: 1-line block ×3, first 2 shown]
	s_waitcnt lgkmcnt(0)
	; wave barrier
	s_waitcnt lgkmcnt(0)
	ds_read_u16 v94, v12
	ds_read_u16 v93, v14
	;; [unrolled: 1-line block ×24, first 2 shown]
	s_waitcnt lgkmcnt(4)
	v_add_u32_sdwa v79, v2, v97 dst_sel:DWORD dst_unused:UNUSED_PAD src0_sel:DWORD src1_sel:WORD_0
	s_waitcnt lgkmcnt(3)
	v_add_u32_sdwa v80, v3, v99 dst_sel:DWORD dst_unused:UNUSED_PAD src0_sel:DWORD src1_sel:WORD_0
	;; [unrolled: 2-line block ×5, first 2 shown]
	ds_read_u16 v2, v109
	ds_read_u16 v3, v111
	;; [unrolled: 1-line block ×8, first 2 shown]
	s_waitcnt lgkmcnt(7)
	v_add_u32_sdwa v96, v2, v104 dst_sel:DWORD dst_unused:UNUSED_PAD src0_sel:DWORD src1_sel:WORD_0
	s_waitcnt lgkmcnt(6)
	v_add_u32_sdwa v97, v3, v107 dst_sel:DWORD dst_unused:UNUSED_PAD src0_sel:DWORD src1_sel:WORD_0
	;; [unrolled: 2-line block ×8, first 2 shown]
	s_cbranch_vccz .LBB9_5
; %bb.16:
	s_mov_b64 s[24:25], -1
                                        ; implicit-def: $sgpr7
                                        ; implicit-def: $vgpr2
                                        ; implicit-def: $vgpr95
                                        ; implicit-def: $vgpr104
                                        ; implicit-def: $vgpr12
                                        ; implicit-def: $vgpr105
                                        ; implicit-def: $vgpr106
                                        ; implicit-def: $vgpr107
                                        ; implicit-def: $vgpr108
                                        ; implicit-def: $vgpr109
                                        ; implicit-def: $vgpr14
                                        ; implicit-def: $vgpr110
                                        ; implicit-def: $vgpr111
                                        ; implicit-def: $vgpr112
                                        ; implicit-def: $vgpr6
                                        ; implicit-def: $vgpr113
                                        ; implicit-def: $vgpr114
                                        ; implicit-def: $vgpr16
                                        ; implicit-def: $vgpr115
                                        ; implicit-def: $vgpr116
                                        ; implicit-def: $vgpr117
                                        ; implicit-def: $vgpr118
                                        ; implicit-def: $vgpr119
                                        ; implicit-def: $vgpr18
                                        ; implicit-def: $vgpr120
                                        ; implicit-def: $vgpr121
                                        ; implicit-def: $vgpr122
.LBB9_17:
	v_add_u32_sdwa v1, v94, v52 dst_sel:DWORD dst_unused:UNUSED_PAD src0_sel:DWORD src1_sel:WORD_0
	; wave barrier
	ds_write_b8 v1, v51
	v_add_u32_sdwa v1, v93, v53 dst_sel:DWORD dst_unused:UNUSED_PAD src0_sel:DWORD src1_sel:WORD_0
	ds_write_b8 v1, v50
	v_add_u32_sdwa v1, v92, v54 dst_sel:DWORD dst_unused:UNUSED_PAD src0_sel:DWORD src1_sel:WORD_0
	;; [unrolled: 2-line block ×18, first 2 shown]
	ds_write_b8 v1, v33
	ds_write_b8 v79, v32
	;; [unrolled: 1-line block ×14, first 2 shown]
	s_waitcnt lgkmcnt(0)
	; wave barrier
	s_waitcnt lgkmcnt(0)
	ds_read_b128 v[2:5], v13
	ds_read_b128 v[6:9], v13 offset:16
	s_waitcnt lgkmcnt(0)
	; wave barrier
	s_waitcnt lgkmcnt(0)
	s_and_saveexec_b64 s[8:9], s[4:5]
	s_cbranch_execz .LBB9_20
; %bb.18:
	v_lshl_add_u32 v1, v0, 2, 12
	s_mov_b64 s[10:11], 0
	v_mov_b32_e32 v10, 0xc0
	v_mov_b32_e32 v11, v0
.LBB9_19:                               ; =>This Inner Loop Header: Depth=1
	v_add_u32_e32 v11, 6, v11
	v_cmp_lt_u32_e32 vcc, 17, v11
	ds_write2_b32 v1, v10, v10 offset1:18
	s_or_b64 s[10:11], vcc, s[10:11]
	v_add_u32_e32 v1, 24, v1
	s_andn2_b64 exec, exec, s[10:11]
	s_cbranch_execnz .LBB9_19
.LBB9_20:
	s_or_b64 exec, exec, s[8:9]
	s_movk_i32 s7, 0xff
	v_and_b32_sdwa v10, v9, s7 dst_sel:DWORD dst_unused:UNUSED_PAD src0_sel:WORD_1 src1_sel:DWORD
	v_lshrrev_b32_e32 v1, 24, v9
	v_cmp_ne_u16_e32 vcc, v10, v1
	s_waitcnt lgkmcnt(0)
	; wave barrier
	s_waitcnt lgkmcnt(0)
	ds_write_b8 v0, v1
	s_and_saveexec_b64 s[8:9], vcc
	s_cbranch_execz .LBB9_22
; %bb.21:
	v_mov_b32_e32 v14, 2
	v_or_b32_e32 v11, 31, v13
	v_lshlrev_b32_sdwa v1, v14, v1 dst_sel:DWORD dst_unused:UNUSED_PAD src0_sel:DWORD src1_sel:WORD_0
	v_lshlrev_b32_e32 v12, 2, v10
	ds_write_b32 v1, v11 offset:12
	ds_write_b32 v12, v11 offset:84
.LBB9_22:
	s_or_b64 exec, exec, s[8:9]
	v_lshrrev_b32_e32 v1, 8, v9
	v_cmp_ne_u16_sdwa s[10:11], v1, v10 src0_sel:BYTE_0 src1_sel:DWORD
	s_and_saveexec_b64 s[8:9], s[10:11]
	s_cbranch_execz .LBB9_24
; %bb.23:
	v_and_b32_sdwa v12, v9, s7 dst_sel:DWORD dst_unused:UNUSED_PAD src0_sel:WORD_1 src1_sel:DWORD
	v_or_b32_e32 v10, 30, v13
	v_mov_b32_e32 v11, 2
	v_lshlrev_b32_e32 v12, 2, v12
	v_lshlrev_b32_sdwa v11, v11, v1 dst_sel:DWORD dst_unused:UNUSED_PAD src0_sel:DWORD src1_sel:BYTE_0
	ds_write_b32 v12, v10 offset:12
	ds_write_b32 v11, v10 offset:84
.LBB9_24:
	s_or_b64 exec, exec, s[8:9]
	v_cmp_ne_u16_sdwa s[10:11], v9, v1 src0_sel:BYTE_0 src1_sel:BYTE_0
	s_and_saveexec_b64 s[8:9], s[10:11]
	s_cbranch_execz .LBB9_26
; %bb.25:
	v_mov_b32_e32 v11, 2
	v_or_b32_e32 v10, 29, v13
	v_lshlrev_b32_sdwa v1, v11, v1 dst_sel:DWORD dst_unused:UNUSED_PAD src0_sel:DWORD src1_sel:BYTE_0
	v_lshlrev_b32_sdwa v12, v11, v9 dst_sel:DWORD dst_unused:UNUSED_PAD src0_sel:DWORD src1_sel:BYTE_0
	ds_write_b32 v1, v10 offset:12
	ds_write_b32 v12, v10 offset:84
.LBB9_26:
	s_or_b64 exec, exec, s[8:9]
	v_lshrrev_b64 v[10:11], 24, v[8:9]
	v_and_b32_e32 v1, 0xff, v10
	v_cmp_ne_u16_sdwa s[10:11], v1, v9 src0_sel:DWORD src1_sel:BYTE_0
	s_and_saveexec_b64 s[8:9], s[10:11]
	s_cbranch_execz .LBB9_28
; %bb.27:
	v_mov_b32_e32 v11, 2
	v_or_b32_e32 v1, 28, v13
	v_lshlrev_b32_sdwa v9, v11, v9 dst_sel:DWORD dst_unused:UNUSED_PAD src0_sel:DWORD src1_sel:BYTE_0
	v_lshlrev_b32_sdwa v12, v11, v10 dst_sel:DWORD dst_unused:UNUSED_PAD src0_sel:DWORD src1_sel:BYTE_0
	ds_write_b32 v9, v1 offset:12
	ds_write_b32 v12, v1 offset:84
.LBB9_28:
	s_or_b64 exec, exec, s[8:9]
	v_and_b32_sdwa v9, v8, s7 dst_sel:DWORD dst_unused:UNUSED_PAD src0_sel:WORD_1 src1_sel:DWORD
	v_cmp_ne_u16_sdwa s[10:11], v9, v10 src0_sel:DWORD src1_sel:BYTE_0
	s_and_saveexec_b64 s[8:9], s[10:11]
	s_cbranch_execz .LBB9_30
; %bb.29:
	v_mov_b32_e32 v12, 2
	v_or_b32_e32 v1, 27, v13
	v_lshlrev_b32_sdwa v10, v12, v10 dst_sel:DWORD dst_unused:UNUSED_PAD src0_sel:DWORD src1_sel:BYTE_0
	v_lshlrev_b32_e32 v11, 2, v9
	ds_write_b32 v10, v1 offset:12
	ds_write_b32 v11, v1 offset:84
.LBB9_30:
	s_or_b64 exec, exec, s[8:9]
	v_lshrrev_b32_e32 v1, 8, v8
	v_cmp_ne_u16_sdwa s[10:11], v1, v9 src0_sel:BYTE_0 src1_sel:DWORD
	s_and_saveexec_b64 s[8:9], s[10:11]
	s_cbranch_execz .LBB9_32
; %bb.31:
	v_and_b32_sdwa v11, v8, s7 dst_sel:DWORD dst_unused:UNUSED_PAD src0_sel:WORD_1 src1_sel:DWORD
	v_or_b32_e32 v9, 26, v13
	v_mov_b32_e32 v10, 2
	v_lshlrev_b32_e32 v11, 2, v11
	v_lshlrev_b32_sdwa v10, v10, v1 dst_sel:DWORD dst_unused:UNUSED_PAD src0_sel:DWORD src1_sel:BYTE_0
	ds_write_b32 v11, v9 offset:12
	ds_write_b32 v10, v9 offset:84
.LBB9_32:
	s_or_b64 exec, exec, s[8:9]
	v_cmp_ne_u16_sdwa s[10:11], v8, v1 src0_sel:BYTE_0 src1_sel:BYTE_0
	s_and_saveexec_b64 s[8:9], s[10:11]
	s_cbranch_execz .LBB9_34
; %bb.33:
	v_mov_b32_e32 v10, 2
	v_or_b32_e32 v9, 25, v13
	v_lshlrev_b32_sdwa v1, v10, v1 dst_sel:DWORD dst_unused:UNUSED_PAD src0_sel:DWORD src1_sel:BYTE_0
	v_lshlrev_b32_sdwa v11, v10, v8 dst_sel:DWORD dst_unused:UNUSED_PAD src0_sel:DWORD src1_sel:BYTE_0
	ds_write_b32 v1, v9 offset:12
	ds_write_b32 v11, v9 offset:84
.LBB9_34:
	s_or_b64 exec, exec, s[8:9]
	v_lshrrev_b32_e32 v1, 24, v7
	v_cmp_ne_u16_sdwa s[10:11], v1, v8 src0_sel:DWORD src1_sel:BYTE_0
	s_and_saveexec_b64 s[8:9], s[10:11]
	s_cbranch_execz .LBB9_36
; %bb.35:
	v_mov_b32_e32 v10, 2
	v_or_b32_e32 v9, 24, v13
	v_lshlrev_b32_sdwa v8, v10, v8 dst_sel:DWORD dst_unused:UNUSED_PAD src0_sel:DWORD src1_sel:BYTE_0
	v_lshlrev_b32_sdwa v11, v10, v1 dst_sel:DWORD dst_unused:UNUSED_PAD src0_sel:DWORD src1_sel:WORD_0
	ds_write_b32 v8, v9 offset:12
	ds_write_b32 v11, v9 offset:84
.LBB9_36:
	s_or_b64 exec, exec, s[8:9]
	v_and_b32_sdwa v8, v7, s7 dst_sel:DWORD dst_unused:UNUSED_PAD src0_sel:WORD_1 src1_sel:DWORD
	v_cmp_ne_u16_e32 vcc, v8, v1
	s_and_saveexec_b64 s[8:9], vcc
	s_cbranch_execz .LBB9_38
; %bb.37:
	v_mov_b32_e32 v11, 2
	v_or_b32_e32 v9, 23, v13
	v_lshlrev_b32_sdwa v1, v11, v1 dst_sel:DWORD dst_unused:UNUSED_PAD src0_sel:DWORD src1_sel:WORD_0
	v_lshlrev_b32_e32 v10, 2, v8
	ds_write_b32 v1, v9 offset:12
	ds_write_b32 v10, v9 offset:84
.LBB9_38:
	s_or_b64 exec, exec, s[8:9]
	v_lshrrev_b32_e32 v1, 8, v7
	v_cmp_ne_u16_sdwa s[10:11], v1, v8 src0_sel:BYTE_0 src1_sel:DWORD
	s_and_saveexec_b64 s[8:9], s[10:11]
	s_cbranch_execz .LBB9_40
; %bb.39:
	v_and_b32_sdwa v10, v7, s7 dst_sel:DWORD dst_unused:UNUSED_PAD src0_sel:WORD_1 src1_sel:DWORD
	v_or_b32_e32 v8, 22, v13
	v_mov_b32_e32 v9, 2
	v_lshlrev_b32_e32 v10, 2, v10
	v_lshlrev_b32_sdwa v9, v9, v1 dst_sel:DWORD dst_unused:UNUSED_PAD src0_sel:DWORD src1_sel:BYTE_0
	ds_write_b32 v10, v8 offset:12
	ds_write_b32 v9, v8 offset:84
.LBB9_40:
	s_or_b64 exec, exec, s[8:9]
	v_cmp_ne_u16_sdwa s[10:11], v7, v1 src0_sel:BYTE_0 src1_sel:BYTE_0
	s_and_saveexec_b64 s[8:9], s[10:11]
	s_cbranch_execz .LBB9_42
; %bb.41:
	v_mov_b32_e32 v9, 2
	v_or_b32_e32 v8, 21, v13
	v_lshlrev_b32_sdwa v1, v9, v1 dst_sel:DWORD dst_unused:UNUSED_PAD src0_sel:DWORD src1_sel:BYTE_0
	v_lshlrev_b32_sdwa v10, v9, v7 dst_sel:DWORD dst_unused:UNUSED_PAD src0_sel:DWORD src1_sel:BYTE_0
	ds_write_b32 v1, v8 offset:12
	ds_write_b32 v10, v8 offset:84
.LBB9_42:
	s_or_b64 exec, exec, s[8:9]
	v_lshrrev_b64 v[8:9], 24, v[6:7]
	v_and_b32_e32 v1, 0xff, v8
	v_cmp_ne_u16_sdwa s[10:11], v1, v7 src0_sel:DWORD src1_sel:BYTE_0
	s_and_saveexec_b64 s[8:9], s[10:11]
	s_cbranch_execz .LBB9_44
; %bb.43:
	v_mov_b32_e32 v9, 2
	v_or_b32_e32 v1, 20, v13
	v_lshlrev_b32_sdwa v7, v9, v7 dst_sel:DWORD dst_unused:UNUSED_PAD src0_sel:DWORD src1_sel:BYTE_0
	v_lshlrev_b32_sdwa v10, v9, v8 dst_sel:DWORD dst_unused:UNUSED_PAD src0_sel:DWORD src1_sel:BYTE_0
	ds_write_b32 v7, v1 offset:12
	ds_write_b32 v10, v1 offset:84
.LBB9_44:
	s_or_b64 exec, exec, s[8:9]
	v_and_b32_sdwa v7, v6, s7 dst_sel:DWORD dst_unused:UNUSED_PAD src0_sel:WORD_1 src1_sel:DWORD
	v_cmp_ne_u16_sdwa s[10:11], v7, v8 src0_sel:DWORD src1_sel:BYTE_0
	s_and_saveexec_b64 s[8:9], s[10:11]
	s_cbranch_execz .LBB9_46
; %bb.45:
	v_mov_b32_e32 v10, 2
	v_or_b32_e32 v1, 19, v13
	v_lshlrev_b32_sdwa v8, v10, v8 dst_sel:DWORD dst_unused:UNUSED_PAD src0_sel:DWORD src1_sel:BYTE_0
	v_lshlrev_b32_e32 v9, 2, v7
	ds_write_b32 v8, v1 offset:12
	ds_write_b32 v9, v1 offset:84
.LBB9_46:
	s_or_b64 exec, exec, s[8:9]
	v_lshrrev_b32_e32 v1, 8, v6
	v_cmp_ne_u16_sdwa s[10:11], v1, v7 src0_sel:BYTE_0 src1_sel:DWORD
	s_and_saveexec_b64 s[8:9], s[10:11]
	s_cbranch_execz .LBB9_48
; %bb.47:
	v_and_b32_sdwa v9, v6, s7 dst_sel:DWORD dst_unused:UNUSED_PAD src0_sel:WORD_1 src1_sel:DWORD
	v_or_b32_e32 v7, 18, v13
	v_mov_b32_e32 v8, 2
	v_lshlrev_b32_e32 v9, 2, v9
	v_lshlrev_b32_sdwa v8, v8, v1 dst_sel:DWORD dst_unused:UNUSED_PAD src0_sel:DWORD src1_sel:BYTE_0
	ds_write_b32 v9, v7 offset:12
	ds_write_b32 v8, v7 offset:84
.LBB9_48:
	s_or_b64 exec, exec, s[8:9]
	v_cmp_ne_u16_sdwa s[10:11], v6, v1 src0_sel:BYTE_0 src1_sel:BYTE_0
	s_and_saveexec_b64 s[8:9], s[10:11]
	s_cbranch_execz .LBB9_50
; %bb.49:
	v_mov_b32_e32 v8, 2
	v_or_b32_e32 v7, 17, v13
	v_lshlrev_b32_sdwa v1, v8, v1 dst_sel:DWORD dst_unused:UNUSED_PAD src0_sel:DWORD src1_sel:BYTE_0
	v_lshlrev_b32_sdwa v9, v8, v6 dst_sel:DWORD dst_unused:UNUSED_PAD src0_sel:DWORD src1_sel:BYTE_0
	ds_write_b32 v1, v7 offset:12
	ds_write_b32 v9, v7 offset:84
.LBB9_50:
	s_or_b64 exec, exec, s[8:9]
	v_lshrrev_b32_e32 v1, 24, v5
	v_cmp_ne_u16_sdwa s[10:11], v1, v6 src0_sel:DWORD src1_sel:BYTE_0
	s_and_saveexec_b64 s[8:9], s[10:11]
	s_cbranch_execz .LBB9_52
; %bb.51:
	v_mov_b32_e32 v8, 2
	v_or_b32_e32 v7, 16, v13
	v_lshlrev_b32_sdwa v6, v8, v6 dst_sel:DWORD dst_unused:UNUSED_PAD src0_sel:DWORD src1_sel:BYTE_0
	v_lshlrev_b32_sdwa v9, v8, v1 dst_sel:DWORD dst_unused:UNUSED_PAD src0_sel:DWORD src1_sel:WORD_0
	ds_write_b32 v6, v7 offset:12
	ds_write_b32 v9, v7 offset:84
.LBB9_52:
	s_or_b64 exec, exec, s[8:9]
	v_and_b32_sdwa v6, v5, s7 dst_sel:DWORD dst_unused:UNUSED_PAD src0_sel:WORD_1 src1_sel:DWORD
	v_cmp_ne_u16_e32 vcc, v6, v1
	s_and_saveexec_b64 s[8:9], vcc
	s_cbranch_execz .LBB9_54
; %bb.53:
	v_mov_b32_e32 v9, 2
	v_or_b32_e32 v7, 15, v13
	v_lshlrev_b32_sdwa v1, v9, v1 dst_sel:DWORD dst_unused:UNUSED_PAD src0_sel:DWORD src1_sel:WORD_0
	v_lshlrev_b32_e32 v8, 2, v6
	ds_write_b32 v1, v7 offset:12
	ds_write_b32 v8, v7 offset:84
.LBB9_54:
	s_or_b64 exec, exec, s[8:9]
	v_lshrrev_b32_e32 v1, 8, v5
	v_cmp_ne_u16_sdwa s[10:11], v1, v6 src0_sel:BYTE_0 src1_sel:DWORD
	s_and_saveexec_b64 s[8:9], s[10:11]
	s_cbranch_execz .LBB9_56
; %bb.55:
	v_and_b32_sdwa v8, v5, s7 dst_sel:DWORD dst_unused:UNUSED_PAD src0_sel:WORD_1 src1_sel:DWORD
	v_or_b32_e32 v6, 14, v13
	v_mov_b32_e32 v7, 2
	v_lshlrev_b32_e32 v8, 2, v8
	v_lshlrev_b32_sdwa v7, v7, v1 dst_sel:DWORD dst_unused:UNUSED_PAD src0_sel:DWORD src1_sel:BYTE_0
	ds_write_b32 v8, v6 offset:12
	ds_write_b32 v7, v6 offset:84
.LBB9_56:
	s_or_b64 exec, exec, s[8:9]
	v_cmp_ne_u16_sdwa s[10:11], v5, v1 src0_sel:BYTE_0 src1_sel:BYTE_0
	s_and_saveexec_b64 s[8:9], s[10:11]
	s_cbranch_execz .LBB9_58
; %bb.57:
	v_mov_b32_e32 v7, 2
	v_or_b32_e32 v6, 13, v13
	v_lshlrev_b32_sdwa v1, v7, v1 dst_sel:DWORD dst_unused:UNUSED_PAD src0_sel:DWORD src1_sel:BYTE_0
	v_lshlrev_b32_sdwa v8, v7, v5 dst_sel:DWORD dst_unused:UNUSED_PAD src0_sel:DWORD src1_sel:BYTE_0
	ds_write_b32 v1, v6 offset:12
	ds_write_b32 v8, v6 offset:84
.LBB9_58:
	s_or_b64 exec, exec, s[8:9]
	v_lshrrev_b64 v[6:7], 24, v[4:5]
	v_and_b32_e32 v1, 0xff, v6
	v_cmp_ne_u16_sdwa s[10:11], v1, v5 src0_sel:DWORD src1_sel:BYTE_0
	s_and_saveexec_b64 s[8:9], s[10:11]
	s_cbranch_execz .LBB9_60
; %bb.59:
	v_mov_b32_e32 v7, 2
	v_or_b32_e32 v1, 12, v13
	v_lshlrev_b32_sdwa v5, v7, v5 dst_sel:DWORD dst_unused:UNUSED_PAD src0_sel:DWORD src1_sel:BYTE_0
	v_lshlrev_b32_sdwa v8, v7, v6 dst_sel:DWORD dst_unused:UNUSED_PAD src0_sel:DWORD src1_sel:BYTE_0
	ds_write_b32 v5, v1 offset:12
	ds_write_b32 v8, v1 offset:84
.LBB9_60:
	s_or_b64 exec, exec, s[8:9]
	v_and_b32_sdwa v5, v4, s7 dst_sel:DWORD dst_unused:UNUSED_PAD src0_sel:WORD_1 src1_sel:DWORD
	v_cmp_ne_u16_sdwa s[10:11], v5, v6 src0_sel:DWORD src1_sel:BYTE_0
	s_and_saveexec_b64 s[8:9], s[10:11]
	s_cbranch_execz .LBB9_62
; %bb.61:
	v_mov_b32_e32 v8, 2
	v_or_b32_e32 v1, 11, v13
	v_lshlrev_b32_sdwa v6, v8, v6 dst_sel:DWORD dst_unused:UNUSED_PAD src0_sel:DWORD src1_sel:BYTE_0
	v_lshlrev_b32_e32 v7, 2, v5
	ds_write_b32 v6, v1 offset:12
	ds_write_b32 v7, v1 offset:84
.LBB9_62:
	s_or_b64 exec, exec, s[8:9]
	v_lshrrev_b32_e32 v1, 8, v4
	v_cmp_ne_u16_sdwa s[10:11], v1, v5 src0_sel:BYTE_0 src1_sel:DWORD
	s_and_saveexec_b64 s[8:9], s[10:11]
	s_cbranch_execz .LBB9_64
; %bb.63:
	v_and_b32_sdwa v7, v4, s7 dst_sel:DWORD dst_unused:UNUSED_PAD src0_sel:WORD_1 src1_sel:DWORD
	v_or_b32_e32 v5, 10, v13
	v_mov_b32_e32 v6, 2
	v_lshlrev_b32_e32 v7, 2, v7
	v_lshlrev_b32_sdwa v6, v6, v1 dst_sel:DWORD dst_unused:UNUSED_PAD src0_sel:DWORD src1_sel:BYTE_0
	ds_write_b32 v7, v5 offset:12
	ds_write_b32 v6, v5 offset:84
.LBB9_64:
	s_or_b64 exec, exec, s[8:9]
	v_cmp_ne_u16_sdwa s[10:11], v4, v1 src0_sel:BYTE_0 src1_sel:BYTE_0
	s_and_saveexec_b64 s[8:9], s[10:11]
	s_cbranch_execz .LBB9_66
; %bb.65:
	v_mov_b32_e32 v6, 2
	v_or_b32_e32 v5, 9, v13
	v_lshlrev_b32_sdwa v1, v6, v1 dst_sel:DWORD dst_unused:UNUSED_PAD src0_sel:DWORD src1_sel:BYTE_0
	v_lshlrev_b32_sdwa v7, v6, v4 dst_sel:DWORD dst_unused:UNUSED_PAD src0_sel:DWORD src1_sel:BYTE_0
	ds_write_b32 v1, v5 offset:12
	ds_write_b32 v7, v5 offset:84
.LBB9_66:
	s_or_b64 exec, exec, s[8:9]
	v_lshrrev_b32_e32 v1, 24, v3
	v_cmp_ne_u16_sdwa s[10:11], v1, v4 src0_sel:DWORD src1_sel:BYTE_0
	s_and_saveexec_b64 s[8:9], s[10:11]
	s_cbranch_execz .LBB9_68
; %bb.67:
	v_mov_b32_e32 v6, 2
	v_or_b32_e32 v5, 8, v13
	v_lshlrev_b32_sdwa v4, v6, v4 dst_sel:DWORD dst_unused:UNUSED_PAD src0_sel:DWORD src1_sel:BYTE_0
	v_lshlrev_b32_sdwa v7, v6, v1 dst_sel:DWORD dst_unused:UNUSED_PAD src0_sel:DWORD src1_sel:WORD_0
	ds_write_b32 v4, v5 offset:12
	ds_write_b32 v7, v5 offset:84
.LBB9_68:
	s_or_b64 exec, exec, s[8:9]
	v_and_b32_sdwa v4, v3, s7 dst_sel:DWORD dst_unused:UNUSED_PAD src0_sel:WORD_1 src1_sel:DWORD
	v_cmp_ne_u16_e32 vcc, v4, v1
	s_and_saveexec_b64 s[8:9], vcc
	s_cbranch_execz .LBB9_70
; %bb.69:
	v_mov_b32_e32 v7, 2
	v_or_b32_e32 v5, 7, v13
	v_lshlrev_b32_sdwa v1, v7, v1 dst_sel:DWORD dst_unused:UNUSED_PAD src0_sel:DWORD src1_sel:WORD_0
	v_lshlrev_b32_e32 v6, 2, v4
	ds_write_b32 v1, v5 offset:12
	ds_write_b32 v6, v5 offset:84
.LBB9_70:
	s_or_b64 exec, exec, s[8:9]
	v_lshrrev_b32_e32 v1, 8, v3
	v_cmp_ne_u16_sdwa s[10:11], v1, v4 src0_sel:BYTE_0 src1_sel:DWORD
	s_and_saveexec_b64 s[8:9], s[10:11]
	s_cbranch_execz .LBB9_72
; %bb.71:
	v_and_b32_sdwa v6, v3, s7 dst_sel:DWORD dst_unused:UNUSED_PAD src0_sel:WORD_1 src1_sel:DWORD
	v_or_b32_e32 v4, 6, v13
	v_mov_b32_e32 v5, 2
	v_lshlrev_b32_e32 v6, 2, v6
	v_lshlrev_b32_sdwa v5, v5, v1 dst_sel:DWORD dst_unused:UNUSED_PAD src0_sel:DWORD src1_sel:BYTE_0
	ds_write_b32 v6, v4 offset:12
	ds_write_b32 v5, v4 offset:84
.LBB9_72:
	s_or_b64 exec, exec, s[8:9]
	v_cmp_ne_u16_sdwa s[10:11], v3, v1 src0_sel:BYTE_0 src1_sel:BYTE_0
	s_and_saveexec_b64 s[8:9], s[10:11]
	s_cbranch_execz .LBB9_74
; %bb.73:
	v_mov_b32_e32 v5, 2
	v_or_b32_e32 v4, 5, v13
	v_lshlrev_b32_sdwa v1, v5, v1 dst_sel:DWORD dst_unused:UNUSED_PAD src0_sel:DWORD src1_sel:BYTE_0
	v_lshlrev_b32_sdwa v6, v5, v3 dst_sel:DWORD dst_unused:UNUSED_PAD src0_sel:DWORD src1_sel:BYTE_0
	ds_write_b32 v1, v4 offset:12
	ds_write_b32 v6, v4 offset:84
.LBB9_74:
	s_or_b64 exec, exec, s[8:9]
	v_lshrrev_b64 v[4:5], 24, v[2:3]
	v_and_b32_e32 v1, 0xff, v4
	v_cmp_ne_u16_sdwa s[10:11], v1, v3 src0_sel:DWORD src1_sel:BYTE_0
	s_and_saveexec_b64 s[8:9], s[10:11]
	s_cbranch_execz .LBB9_76
; %bb.75:
	v_mov_b32_e32 v5, 2
	v_or_b32_e32 v1, 4, v13
	v_lshlrev_b32_sdwa v3, v5, v3 dst_sel:DWORD dst_unused:UNUSED_PAD src0_sel:DWORD src1_sel:BYTE_0
	v_lshlrev_b32_sdwa v6, v5, v4 dst_sel:DWORD dst_unused:UNUSED_PAD src0_sel:DWORD src1_sel:BYTE_0
	ds_write_b32 v3, v1 offset:12
	ds_write_b32 v6, v1 offset:84
.LBB9_76:
	s_or_b64 exec, exec, s[8:9]
	v_and_b32_sdwa v3, v2, s7 dst_sel:DWORD dst_unused:UNUSED_PAD src0_sel:WORD_1 src1_sel:DWORD
	v_cmp_ne_u16_sdwa s[10:11], v3, v4 src0_sel:DWORD src1_sel:BYTE_0
	s_and_saveexec_b64 s[8:9], s[10:11]
	s_cbranch_execz .LBB9_78
; %bb.77:
	v_mov_b32_e32 v6, 2
	v_or_b32_e32 v1, 3, v13
	v_lshlrev_b32_sdwa v4, v6, v4 dst_sel:DWORD dst_unused:UNUSED_PAD src0_sel:DWORD src1_sel:BYTE_0
	v_lshlrev_b32_e32 v5, 2, v3
	ds_write_b32 v4, v1 offset:12
	ds_write_b32 v5, v1 offset:84
.LBB9_78:
	s_or_b64 exec, exec, s[8:9]
	v_lshrrev_b32_e32 v1, 8, v2
	v_cmp_ne_u16_sdwa s[10:11], v1, v3 src0_sel:BYTE_0 src1_sel:DWORD
	s_and_saveexec_b64 s[8:9], s[10:11]
	s_cbranch_execz .LBB9_80
; %bb.79:
	v_and_b32_sdwa v5, v2, s7 dst_sel:DWORD dst_unused:UNUSED_PAD src0_sel:WORD_1 src1_sel:DWORD
	v_or_b32_e32 v3, 2, v13
	v_mov_b32_e32 v4, 2
	v_lshlrev_b32_e32 v5, 2, v5
	v_lshlrev_b32_sdwa v4, v4, v1 dst_sel:DWORD dst_unused:UNUSED_PAD src0_sel:DWORD src1_sel:BYTE_0
	ds_write_b32 v5, v3 offset:12
	ds_write_b32 v4, v3 offset:84
.LBB9_80:
	s_or_b64 exec, exec, s[8:9]
	v_cmp_ne_u16_sdwa s[10:11], v2, v1 src0_sel:BYTE_0 src1_sel:BYTE_0
	s_and_saveexec_b64 s[8:9], s[10:11]
	s_cbranch_execz .LBB9_82
; %bb.81:
	v_mov_b32_e32 v4, 2
	v_or_b32_e32 v3, 1, v13
	v_lshlrev_b32_sdwa v1, v4, v1 dst_sel:DWORD dst_unused:UNUSED_PAD src0_sel:DWORD src1_sel:BYTE_0
	v_lshlrev_b32_sdwa v5, v4, v2 dst_sel:DWORD dst_unused:UNUSED_PAD src0_sel:DWORD src1_sel:BYTE_0
	ds_write_b32 v1, v3 offset:12
	ds_write_b32 v5, v3 offset:84
.LBB9_82:
	s_or_b64 exec, exec, s[8:9]
	v_cmp_eq_u32_e32 vcc, 0, v0
	v_cmp_ne_u32_e64 s[8:9], 0, v0
	s_waitcnt lgkmcnt(0)
	; wave barrier
	s_waitcnt lgkmcnt(0)
	s_and_saveexec_b64 s[10:11], s[8:9]
	s_cbranch_execz .LBB9_85
; %bb.83:
	v_add_u32_e32 v1, -1, v0
	ds_read_u8 v3, v1
	s_waitcnt lgkmcnt(0)
	v_cmp_ne_u16_sdwa s[8:9], v3, v2 src0_sel:DWORD src1_sel:BYTE_0
	s_and_b64 exec, exec, s[8:9]
	s_cbranch_execz .LBB9_85
; %bb.84:
	v_mov_b32_e32 v3, 2
	v_lshlrev_b32_sdwa v3, v3, v2 dst_sel:DWORD dst_unused:UNUSED_PAD src0_sel:DWORD src1_sel:BYTE_0
	ds_write_b32 v3, v13 offset:12
	ds_read_u8 v1, v1
	s_waitcnt lgkmcnt(0)
	v_lshlrev_b32_e32 v1, 2, v1
	ds_write_b32 v1, v13 offset:84
.LBB9_85:
	s_or_b64 exec, exec, s[10:11]
	s_waitcnt lgkmcnt(0)
	; wave barrier
	s_waitcnt lgkmcnt(0)
	s_and_saveexec_b64 s[8:9], vcc
	s_cbranch_execz .LBB9_87
; %bb.86:
	v_mov_b32_e32 v1, 2
	v_lshlrev_b32_sdwa v1, v1, v2 dst_sel:DWORD dst_unused:UNUSED_PAD src0_sel:DWORD src1_sel:BYTE_0
	v_mov_b32_e32 v2, 0
	ds_write_b32 v1, v2 offset:12
.LBB9_87:
	s_or_b64 exec, exec, s[8:9]
	v_lshlrev_b32_e32 v1, 2, v0
	s_waitcnt lgkmcnt(0)
	; wave barrier
	s_waitcnt lgkmcnt(0)
	s_and_saveexec_b64 s[8:9], s[4:5]
	s_cbranch_execnz .LBB9_97
; %bb.88:
	s_or_b64 exec, exec, s[8:9]
	s_and_saveexec_b64 s[8:9], s[2:3]
	s_cbranch_execnz .LBB9_98
.LBB9_89:
	s_or_b64 exec, exec, s[8:9]
	s_and_saveexec_b64 s[8:9], s[0:1]
	s_cbranch_execz .LBB9_91
.LBB9_90:
	ds_read2_b32 v[2:3], v1 offset0:15 offset1:33
	ds_read_u8 v1, v0 offset:220
	s_waitcnt lgkmcnt(1)
	v_sub_u32_e32 v2, v3, v2
	s_waitcnt lgkmcnt(0)
	v_add_u16_e32 v1, v1, v2
	ds_write_b8 v0, v1 offset:220
.LBB9_91:
	s_or_b64 exec, exec, s[8:9]
	s_mul_i32 s8, s6, 18
	v_mov_b32_e32 v1, s8
	s_waitcnt lgkmcnt(0)
	; wave barrier
	s_waitcnt lgkmcnt(0)
	s_and_saveexec_b64 s[6:7], s[4:5]
	s_cbranch_execnz .LBB9_99
; %bb.92:
	s_or_b64 exec, exec, s[6:7]
	s_and_saveexec_b64 s[4:5], s[2:3]
	s_cbranch_execnz .LBB9_100
.LBB9_93:
	s_or_b64 exec, exec, s[4:5]
	s_and_saveexec_b64 s[2:3], s[0:1]
	s_cbranch_execnz .LBB9_101
.LBB9_94:
	s_endpgm
.LBB9_95:
	v_mov_b32_e32 v1, 0
	ds_write_b8 v0, v1 offset:208
	s_or_b64 exec, exec, s[0:1]
	v_cmp_gt_u32_e64 s[2:3], 12, v0
	s_and_saveexec_b64 s[0:1], s[2:3]
	s_cbranch_execz .LBB9_2
.LBB9_96:
	v_mov_b32_e32 v1, 0
	ds_write_b8 v0, v1 offset:214
	s_or_b64 exec, exec, s[0:1]
	v_cmp_gt_u32_e64 s[0:1], 6, v0
	s_and_saveexec_b64 s[8:9], s[0:1]
	s_cbranch_execnz .LBB9_3
	s_branch .LBB9_4
.LBB9_97:
	ds_read2_b32 v[2:3], v1 offset0:3 offset1:21
	ds_read_u8 v4, v0 offset:208
	s_waitcnt lgkmcnt(1)
	v_sub_u32_e32 v2, v3, v2
	s_waitcnt lgkmcnt(0)
	v_add_u16_e32 v2, v4, v2
	ds_write_b8 v0, v2 offset:208
	s_or_b64 exec, exec, s[8:9]
	s_and_saveexec_b64 s[8:9], s[2:3]
	s_cbranch_execz .LBB9_89
.LBB9_98:
	ds_read2_b32 v[2:3], v1 offset0:9 offset1:27
	ds_read_u8 v4, v0 offset:214
	s_waitcnt lgkmcnt(1)
	v_sub_u32_e32 v2, v3, v2
	s_waitcnt lgkmcnt(0)
	v_add_u16_e32 v2, v4, v2
	ds_write_b8 v0, v2 offset:214
	s_or_b64 exec, exec, s[8:9]
	s_and_saveexec_b64 s[8:9], s[0:1]
	s_cbranch_execnz .LBB9_90
	s_branch .LBB9_91
.LBB9_99:
	ds_read_u8 v1, v0 offset:208
	s_add_i32 s4, s8, 6
	v_add_u32_e32 v2, s8, v0
	s_waitcnt lgkmcnt(0)
	global_store_byte v2, v1, s[22:23]
	v_mov_b32_e32 v1, s4
	s_or_b64 exec, exec, s[6:7]
	s_and_saveexec_b64 s[4:5], s[2:3]
	s_cbranch_execz .LBB9_93
.LBB9_100:
	ds_read_u8 v2, v0 offset:214
	v_add_u32_e32 v3, 6, v1
	v_add_u32_e32 v1, v1, v0
	s_waitcnt lgkmcnt(0)
	global_store_byte v1, v2, s[22:23]
	v_mov_b32_e32 v1, v3
	s_or_b64 exec, exec, s[4:5]
	s_and_saveexec_b64 s[2:3], s[0:1]
	s_cbranch_execz .LBB9_94
.LBB9_101:
	ds_read_u8 v2, v0 offset:220
	v_add_u32_e32 v0, v1, v0
	s_waitcnt lgkmcnt(0)
	global_store_byte v0, v2, s[22:23]
	s_endpgm
	.section	.rodata,"a",@progbits
	.p2align	6, 0x0
	.amdhsa_kernel _Z16histogram_kernelILj6ELj32ELj18ELN6hipcub23BlockHistogramAlgorithmE1EhEvPT3_S3_
		.amdhsa_group_segment_fixed_size 226
		.amdhsa_private_segment_fixed_size 0
		.amdhsa_kernarg_size 16
		.amdhsa_user_sgpr_count 6
		.amdhsa_user_sgpr_private_segment_buffer 1
		.amdhsa_user_sgpr_dispatch_ptr 0
		.amdhsa_user_sgpr_queue_ptr 0
		.amdhsa_user_sgpr_kernarg_segment_ptr 1
		.amdhsa_user_sgpr_dispatch_id 0
		.amdhsa_user_sgpr_flat_scratch_init 0
		.amdhsa_user_sgpr_kernarg_preload_length 0
		.amdhsa_user_sgpr_kernarg_preload_offset 0
		.amdhsa_user_sgpr_private_segment_size 0
		.amdhsa_uses_dynamic_stack 0
		.amdhsa_system_sgpr_private_segment_wavefront_offset 0
		.amdhsa_system_sgpr_workgroup_id_x 1
		.amdhsa_system_sgpr_workgroup_id_y 0
		.amdhsa_system_sgpr_workgroup_id_z 0
		.amdhsa_system_sgpr_workgroup_info 0
		.amdhsa_system_vgpr_workitem_id 0
		.amdhsa_next_free_vgpr 123
		.amdhsa_next_free_sgpr 34
		.amdhsa_accum_offset 124
		.amdhsa_reserve_vcc 1
		.amdhsa_reserve_flat_scratch 0
		.amdhsa_float_round_mode_32 0
		.amdhsa_float_round_mode_16_64 0
		.amdhsa_float_denorm_mode_32 3
		.amdhsa_float_denorm_mode_16_64 3
		.amdhsa_dx10_clamp 1
		.amdhsa_ieee_mode 1
		.amdhsa_fp16_overflow 0
		.amdhsa_tg_split 0
		.amdhsa_exception_fp_ieee_invalid_op 0
		.amdhsa_exception_fp_denorm_src 0
		.amdhsa_exception_fp_ieee_div_zero 0
		.amdhsa_exception_fp_ieee_overflow 0
		.amdhsa_exception_fp_ieee_underflow 0
		.amdhsa_exception_fp_ieee_inexact 0
		.amdhsa_exception_int_div_zero 0
	.end_amdhsa_kernel
	.section	.text._Z16histogram_kernelILj6ELj32ELj18ELN6hipcub23BlockHistogramAlgorithmE1EhEvPT3_S3_,"axG",@progbits,_Z16histogram_kernelILj6ELj32ELj18ELN6hipcub23BlockHistogramAlgorithmE1EhEvPT3_S3_,comdat
.Lfunc_end9:
	.size	_Z16histogram_kernelILj6ELj32ELj18ELN6hipcub23BlockHistogramAlgorithmE1EhEvPT3_S3_, .Lfunc_end9-_Z16histogram_kernelILj6ELj32ELj18ELN6hipcub23BlockHistogramAlgorithmE1EhEvPT3_S3_
                                        ; -- End function
	.section	.AMDGPU.csdata,"",@progbits
; Kernel info:
; codeLenInByte = 7220
; NumSgprs: 38
; NumVgprs: 123
; NumAgprs: 0
; TotalNumVgprs: 123
; ScratchSize: 0
; MemoryBound: 0
; FloatMode: 240
; IeeeMode: 1
; LDSByteSize: 226 bytes/workgroup (compile time only)
; SGPRBlocks: 4
; VGPRBlocks: 15
; NumSGPRsForWavesPerEU: 38
; NumVGPRsForWavesPerEU: 123
; AccumOffset: 124
; Occupancy: 4
; WaveLimiterHint : 0
; COMPUTE_PGM_RSRC2:SCRATCH_EN: 0
; COMPUTE_PGM_RSRC2:USER_SGPR: 6
; COMPUTE_PGM_RSRC2:TRAP_HANDLER: 0
; COMPUTE_PGM_RSRC2:TGID_X_EN: 1
; COMPUTE_PGM_RSRC2:TGID_Y_EN: 0
; COMPUTE_PGM_RSRC2:TGID_Z_EN: 0
; COMPUTE_PGM_RSRC2:TIDIG_COMP_CNT: 0
; COMPUTE_PGM_RSRC3_GFX90A:ACCUM_OFFSET: 30
; COMPUTE_PGM_RSRC3_GFX90A:TG_SPLIT: 0
	.section	.text._Z16histogram_kernelILj255ELj15ELj255ELN6hipcub23BlockHistogramAlgorithmE1EjEvPT3_S3_,"axG",@progbits,_Z16histogram_kernelILj255ELj15ELj255ELN6hipcub23BlockHistogramAlgorithmE1EjEvPT3_S3_,comdat
	.protected	_Z16histogram_kernelILj255ELj15ELj255ELN6hipcub23BlockHistogramAlgorithmE1EjEvPT3_S3_ ; -- Begin function _Z16histogram_kernelILj255ELj15ELj255ELN6hipcub23BlockHistogramAlgorithmE1EjEvPT3_S3_
	.globl	_Z16histogram_kernelILj255ELj15ELj255ELN6hipcub23BlockHistogramAlgorithmE1EjEvPT3_S3_
	.p2align	8
	.type	_Z16histogram_kernelILj255ELj15ELj255ELN6hipcub23BlockHistogramAlgorithmE1EjEvPT3_S3_,@function
_Z16histogram_kernelILj255ELj15ELj255ELN6hipcub23BlockHistogramAlgorithmE1EjEvPT3_S3_: ; @_Z16histogram_kernelILj255ELj15ELj255ELN6hipcub23BlockHistogramAlgorithmE1EjEvPT3_S3_
; %bb.0:
	s_load_dwordx4 s[28:31], s[4:5], 0x0
	s_mulk_i32 s6, 0xff
	v_add_u32_e32 v2, s6, v0
	v_mul_lo_u32 v4, v2, 15
	v_mov_b32_e32 v5, 0
	v_lshlrev_b64 v[6:7], 2, v[4:5]
	s_waitcnt lgkmcnt(0)
	v_mov_b32_e32 v1, s29
	v_add_co_u32_e32 v14, vcc, s28, v6
	v_addc_co_u32_e32 v15, vcc, v1, v7, vcc
	v_add_u32_e32 v6, 1, v4
	v_mov_b32_e32 v7, v5
	v_lshlrev_b64 v[6:7], 2, v[6:7]
	v_add_co_u32_e32 v16, vcc, s28, v6
	v_addc_co_u32_e32 v17, vcc, v1, v7, vcc
	v_add_u32_e32 v6, 2, v4
	v_mov_b32_e32 v7, v5
	v_lshlrev_b64 v[6:7], 2, v[6:7]
	;; [unrolled: 5-line block ×7, first 2 shown]
	v_add_co_u32_e32 v28, vcc, s28, v6
	v_addc_co_u32_e32 v29, vcc, v1, v7, vcc
	global_load_dword v6, v[14:15], off
	global_load_dword v7, v[16:17], off
	;; [unrolled: 1-line block ×8, first 2 shown]
	v_add_u32_e32 v14, 8, v4
	v_mov_b32_e32 v15, v5
	v_lshlrev_b64 v[14:15], 2, v[14:15]
	v_add_co_u32_e32 v20, vcc, s28, v14
	v_addc_co_u32_e32 v21, vcc, v1, v15, vcc
	v_add_u32_e32 v14, 9, v4
	v_mov_b32_e32 v15, v5
	v_lshlrev_b64 v[14:15], 2, v[14:15]
	v_add_co_u32_e32 v22, vcc, s28, v14
	v_addc_co_u32_e32 v23, vcc, v1, v15, vcc
	;; [unrolled: 5-line block ×5, first 2 shown]
	v_add_u32_e32 v14, 13, v4
	v_mov_b32_e32 v15, v5
	v_lshlrev_b64 v[14:15], 2, v[14:15]
	v_add_co_u32_e32 v30, vcc, s28, v14
	v_add_u32_e32 v4, 14, v4
	v_addc_co_u32_e32 v31, vcc, v1, v15, vcc
	v_lshlrev_b64 v[14:15], 2, v[4:5]
	v_add_co_u32_e32 v32, vcc, s28, v14
	v_addc_co_u32_e32 v33, vcc, v1, v15, vcc
	global_load_dword v14, v[20:21], off
	global_load_dword v15, v[22:23], off
	;; [unrolled: 1-line block ×7, first 2 shown]
	s_movk_i32 s33, 0xff
	s_mov_b32 s36, 0
	v_cmp_gt_u32_e64 s[0:1], s33, v0
	v_lshlrev_b32_e32 v20, 2, v0
	s_and_saveexec_b64 s[2:3], s[0:1]
	s_cbranch_execz .LBB10_2
; %bb.1:
	ds_write_b32 v20, v5 offset:15312
.LBB10_2:
	s_or_b64 exec, exec, s[2:3]
	v_mbcnt_lo_u32_b32 v1, -1, 0
	v_mbcnt_hi_u32_b32 v1, -1, v1
	v_and_b32_e32 v3, 15, v1
	v_cmp_eq_u32_e64 s[2:3], 0, v3
	v_cmp_lt_u32_e64 s[4:5], 1, v3
	v_cmp_lt_u32_e64 s[6:7], 3, v3
	;; [unrolled: 1-line block ×3, first 2 shown]
	v_and_b32_e32 v3, 16, v1
	v_cmp_eq_u32_e64 s[10:11], 0, v3
	v_and_b32_e32 v3, 0xc0, v0
	v_min_u32_e32 v3, 0xbf, v3
	v_add_u32_e32 v3, 63, v3
	v_cmp_eq_u32_e64 s[14:15], v3, v0
	v_add_u32_e32 v3, -1, v1
	v_and_b32_e32 v4, 64, v1
	v_cmp_lt_i32_e32 vcc, v3, v4
	v_cmp_lt_u32_e64 s[12:13], 31, v1
	v_cndmask_b32_e32 v3, v3, v1, vcc
	v_cmp_eq_u32_e64 s[20:21], 0, v1
	v_and_b32_e32 v1, 3, v1
	v_cmp_eq_u32_e64 s[22:23], 0, v1
	v_cmp_lt_u32_e64 s[24:25], 1, v1
	v_sub_u32_e32 v1, 0x6f8, v0
	s_mov_b32 s26, 0x1010102
	v_lshlrev_b32_e32 v24, 2, v3
	v_lshrrev_b32_e32 v3, 4, v0
	v_mul_hi_u32 v1, v1, s26
	v_and_b32_e32 v25, 12, v3
	v_mul_u32_u24_e32 v21, 15, v0
	v_add_u32_e32 v3, 3, v1
	v_add_u32_e32 v4, 1, v1
	v_lshlrev_b32_e32 v23, 5, v0
	v_cmp_gt_u32_e64 s[16:17], 4, v0
	v_cmp_lt_u32_e64 s[18:19], 63, v0
	v_lshlrev_b32_e32 v22, 2, v21
	v_and_b32_e32 v29, 30, v3
	v_add_u32_e32 v1, 0xff, v0
	v_mov_b32_e32 v3, v4
	s_waitcnt lgkmcnt(0)
	s_barrier
	s_branch .LBB10_4
.LBB10_3:                               ;   in Loop: Header=BB10_4 Depth=1
	v_lshlrev_b32_e32 v6, 2, v56
	s_barrier
	ds_write_b32 v6, v41
	v_lshlrev_b32_e32 v6, 2, v53
	ds_write_b32 v6, v40
	v_lshlrev_b32_e32 v6, 2, v50
	;; [unrolled: 2-line block ×14, first 2 shown]
	ds_write_b32 v6, v26
	s_waitcnt lgkmcnt(0)
	s_barrier
	ds_read2_b32 v[6:7], v22 offset1:1
	ds_read2_b32 v[8:9], v22 offset0:2 offset1:3
	ds_read2_b32 v[10:11], v22 offset0:4 offset1:5
	;; [unrolled: 1-line block ×6, first 2 shown]
	ds_read_b32 v45, v22 offset:56
	s_add_i32 s36, s36, 4
	s_waitcnt lgkmcnt(0)
	s_barrier
	s_cbranch_execz .LBB10_18
.LBB10_4:                               ; =>This Loop Header: Depth=1
                                        ;     Child Loop BB10_6 Depth 2
	s_waitcnt vmcnt(0)
	v_mov_b32_e32 v26, v45
	v_mov_b32_e32 v27, v19
	;; [unrolled: 1-line block ×15, first 2 shown]
	s_mov_b32 s37, 0
	s_mov_b64 s[28:29], 0
	v_pk_mov_b32 v[6:7], v[0:1], v[0:1] op_sel:[0,1]
	s_branch .LBB10_6
.LBB10_5:                               ;   in Loop: Header=BB10_6 Depth=2
	s_or_b64 exec, exec, s[26:27]
	s_add_i32 s37, s37, 2
	v_cmp_eq_u32_e32 vcc, s37, v29
	v_add_u32_e32 v7, 0x1fe, v7
	s_or_b64 s[28:29], vcc, s[28:29]
	v_add_u32_e32 v6, 0x1fe, v6
	s_andn2_b64 exec, exec, s[28:29]
	s_cbranch_execz .LBB10_10
.LBB10_6:                               ;   Parent Loop BB10_4 Depth=1
                                        ; =>  This Inner Loop Header: Depth=2
	s_or_b32 s26, s37, 1
	v_cmp_le_u32_e32 vcc, s26, v3
	v_cmp_le_u32_e64 s[26:27], s37, v4
	s_and_saveexec_b64 s[34:35], s[26:27]
	s_cbranch_execz .LBB10_8
; %bb.7:                                ;   in Loop: Header=BB10_6 Depth=2
	v_lshlrev_b32_e32 v8, 2, v6
	ds_write_b32 v8, v5
.LBB10_8:                               ;   in Loop: Header=BB10_6 Depth=2
	s_or_b64 exec, exec, s[34:35]
	s_and_saveexec_b64 s[26:27], vcc
	s_cbranch_execz .LBB10_5
; %bb.9:                                ;   in Loop: Header=BB10_6 Depth=2
	v_lshlrev_b32_e32 v8, 2, v7
	ds_write_b32 v8, v5
	s_branch .LBB10_5
.LBB10_10:                              ;   in Loop: Header=BB10_4 Depth=1
	s_or_b64 exec, exec, s[28:29]
	v_lshrrev_b32_e32 v6, s36, v41
	v_bfe_u32 v7, v41, s36, 3
	v_lshrrev_b32_e32 v6, 2, v6
	v_mad_u32_u24 v7, v7, s33, v0
	v_and_b32_e32 v6, 2, v6
	v_lshl_or_b32 v16, v7, 2, v6
	ds_read_u16 v14, v16
	v_lshrrev_b32_e32 v6, s36, v40
	v_bfe_u32 v7, v40, s36, 3
	v_lshrrev_b32_e32 v6, 2, v6
	v_mad_u32_u24 v7, v7, s33, v0
	s_waitcnt lgkmcnt(0)
	v_add_u16_e32 v8, 1, v14
	v_and_b32_e32 v6, 2, v6
	ds_write_b16 v16, v8
	v_lshl_or_b32 v18, v7, 2, v6
	ds_read_u16 v15, v18
	v_bfe_u32 v7, v39, s36, 3
	v_mad_u32_u24 v7, v7, s33, v0
	s_waitcnt lgkmcnt(0)
	v_add_u16_e32 v6, 1, v15
	ds_write_b16 v18, v6
	v_lshrrev_b32_e32 v6, s36, v39
	v_lshrrev_b32_e32 v6, 2, v6
	v_and_b32_e32 v6, 2, v6
	v_lshl_or_b32 v42, v7, 2, v6
	ds_read_u16 v17, v42
	v_bfe_u32 v7, v38, s36, 3
	v_mad_u32_u24 v7, v7, s33, v0
	s_waitcnt lgkmcnt(0)
	v_add_u16_e32 v6, 1, v17
	ds_write_b16 v42, v6
	v_lshrrev_b32_e32 v6, s36, v38
	v_lshrrev_b32_e32 v6, 2, v6
	v_and_b32_e32 v6, 2, v6
	v_lshl_or_b32 v44, v7, 2, v6
	ds_read_u16 v19, v44
	v_bfe_u32 v7, v37, s36, 3
	v_mad_u32_u24 v7, v7, s33, v0
	s_waitcnt lgkmcnt(0)
	v_add_u16_e32 v6, 1, v19
	ds_write_b16 v44, v6
	v_lshrrev_b32_e32 v6, s36, v37
	v_lshrrev_b32_e32 v6, 2, v6
	v_and_b32_e32 v6, 2, v6
	v_lshl_or_b32 v46, v7, 2, v6
	ds_read_u16 v43, v46
	v_bfe_u32 v7, v36, s36, 3
	v_mad_u32_u24 v7, v7, s33, v0
	s_waitcnt lgkmcnt(0)
	v_add_u16_e32 v6, 1, v43
	ds_write_b16 v46, v6
	v_lshrrev_b32_e32 v6, s36, v36
	v_lshrrev_b32_e32 v6, 2, v6
	v_and_b32_e32 v6, 2, v6
	v_lshl_or_b32 v48, v7, 2, v6
	ds_read_u16 v45, v48
	v_bfe_u32 v7, v35, s36, 3
	v_mad_u32_u24 v7, v7, s33, v0
	s_waitcnt lgkmcnt(0)
	v_add_u16_e32 v6, 1, v45
	ds_write_b16 v48, v6
	v_lshrrev_b32_e32 v6, s36, v35
	v_lshrrev_b32_e32 v6, 2, v6
	v_and_b32_e32 v6, 2, v6
	v_lshl_or_b32 v50, v7, 2, v6
	ds_read_u16 v47, v50
	v_bfe_u32 v7, v34, s36, 3
	v_mad_u32_u24 v7, v7, s33, v0
	s_waitcnt lgkmcnt(0)
	v_add_u16_e32 v6, 1, v47
	ds_write_b16 v50, v6
	v_lshrrev_b32_e32 v6, s36, v34
	v_lshrrev_b32_e32 v6, 2, v6
	v_and_b32_e32 v6, 2, v6
	v_lshl_or_b32 v53, v7, 2, v6
	ds_read_u16 v51, v53
	v_bfe_u32 v7, v33, s36, 3
	v_mad_u32_u24 v7, v7, s33, v0
	s_waitcnt lgkmcnt(0)
	v_add_u16_e32 v6, 1, v51
	ds_write_b16 v53, v6
	v_lshrrev_b32_e32 v6, s36, v33
	v_lshrrev_b32_e32 v6, 2, v6
	v_and_b32_e32 v6, 2, v6
	v_lshl_or_b32 v54, v7, 2, v6
	ds_read_u16 v49, v54
	v_bfe_u32 v7, v32, s36, 3
	v_mad_u32_u24 v7, v7, s33, v0
	s_waitcnt lgkmcnt(0)
	v_add_u16_e32 v6, 1, v49
	ds_write_b16 v54, v6
	v_lshrrev_b32_e32 v6, s36, v32
	v_lshrrev_b32_e32 v6, 2, v6
	v_and_b32_e32 v6, 2, v6
	v_lshl_or_b32 v57, v7, 2, v6
	ds_read_u16 v52, v57
	v_bfe_u32 v7, v31, s36, 3
	v_mad_u32_u24 v7, v7, s33, v0
	s_waitcnt lgkmcnt(0)
	v_add_u16_e32 v6, 1, v52
	ds_write_b16 v57, v6
	v_lshrrev_b32_e32 v6, s36, v31
	v_lshrrev_b32_e32 v6, 2, v6
	v_and_b32_e32 v6, 2, v6
	v_lshl_or_b32 v58, v7, 2, v6
	ds_read_u16 v55, v58
	v_bfe_u32 v7, v30, s36, 3
	v_mad_u32_u24 v7, v7, s33, v0
	s_waitcnt lgkmcnt(0)
	v_add_u16_e32 v6, 1, v55
	ds_write_b16 v58, v6
	v_lshrrev_b32_e32 v6, s36, v30
	v_lshrrev_b32_e32 v6, 2, v6
	v_and_b32_e32 v6, 2, v6
	v_lshl_or_b32 v61, v7, 2, v6
	ds_read_u16 v59, v61
	v_bfe_u32 v7, v28, s36, 3
	v_mad_u32_u24 v7, v7, s33, v0
	s_waitcnt lgkmcnt(0)
	v_add_u16_e32 v6, 1, v59
	ds_write_b16 v61, v6
	v_lshrrev_b32_e32 v6, s36, v28
	v_lshrrev_b32_e32 v6, 2, v6
	v_and_b32_e32 v6, 2, v6
	v_lshl_or_b32 v62, v7, 2, v6
	ds_read_u16 v60, v62
	v_bfe_u32 v7, v27, s36, 3
	v_mad_u32_u24 v7, v7, s33, v0
	s_waitcnt lgkmcnt(0)
	v_add_u16_e32 v6, 1, v60
	ds_write_b16 v62, v6
	v_lshrrev_b32_e32 v6, s36, v27
	v_lshrrev_b32_e32 v6, 2, v6
	v_and_b32_e32 v6, 2, v6
	v_lshl_or_b32 v65, v7, 2, v6
	ds_read_u16 v63, v65
	v_bfe_u32 v7, v26, s36, 3
	v_mad_u32_u24 v7, v7, s33, v0
	s_waitcnt lgkmcnt(0)
	v_add_u16_e32 v6, 1, v63
	ds_write_b16 v65, v6
	v_lshrrev_b32_e32 v6, s36, v26
	v_lshrrev_b32_e32 v6, 2, v6
	v_and_b32_e32 v6, 2, v6
	v_lshl_or_b32 v66, v7, 2, v6
	ds_read_u16 v64, v66
	s_waitcnt lgkmcnt(0)
	v_add_u16_e32 v6, 1, v64
	ds_write_b16 v66, v6
	s_waitcnt lgkmcnt(0)
	s_barrier
	ds_read2_b32 v[12:13], v23 offset1:1
	ds_read2_b32 v[10:11], v23 offset0:2 offset1:3
	ds_read2_b32 v[8:9], v23 offset0:4 offset1:5
	;; [unrolled: 1-line block ×3, first 2 shown]
	s_waitcnt lgkmcnt(3)
	v_add_u32_e32 v56, v13, v12
	s_waitcnt lgkmcnt(2)
	v_add3_u32 v56, v56, v10, v11
	s_waitcnt lgkmcnt(1)
	v_add3_u32 v56, v56, v8, v9
	;; [unrolled: 2-line block ×3, first 2 shown]
	s_nop 1
	v_mov_b32_dpp v56, v7 row_shr:1 row_mask:0xf bank_mask:0xf
	v_cndmask_b32_e64 v56, v56, 0, s[2:3]
	v_add_u32_e32 v7, v56, v7
	s_nop 1
	v_mov_b32_dpp v56, v7 row_shr:2 row_mask:0xf bank_mask:0xf
	v_cndmask_b32_e64 v56, 0, v56, s[4:5]
	v_add_u32_e32 v7, v7, v56
	;; [unrolled: 4-line block ×4, first 2 shown]
	s_nop 1
	v_mov_b32_dpp v56, v7 row_bcast:15 row_mask:0xf bank_mask:0xf
	v_cndmask_b32_e64 v56, v56, 0, s[10:11]
	v_add_u32_e32 v7, v7, v56
	s_nop 1
	v_mov_b32_dpp v56, v7 row_bcast:31 row_mask:0xf bank_mask:0xf
	v_cndmask_b32_e64 v56, 0, v56, s[12:13]
	v_add_u32_e32 v7, v7, v56
	s_and_saveexec_b64 s[26:27], s[14:15]
	s_cbranch_execz .LBB10_12
; %bb.11:                               ;   in Loop: Header=BB10_4 Depth=1
	ds_write_b32 v25, v7 offset:8160
.LBB10_12:                              ;   in Loop: Header=BB10_4 Depth=1
	s_or_b64 exec, exec, s[26:27]
	s_waitcnt lgkmcnt(0)
	s_barrier
	s_and_saveexec_b64 s[26:27], s[16:17]
	s_cbranch_execz .LBB10_14
; %bb.13:                               ;   in Loop: Header=BB10_4 Depth=1
	ds_read_b32 v56, v20 offset:8160
	s_waitcnt lgkmcnt(0)
	s_nop 0
	v_mov_b32_dpp v67, v56 row_shr:1 row_mask:0xf bank_mask:0xf
	v_cndmask_b32_e64 v67, v67, 0, s[22:23]
	v_add_u32_e32 v56, v67, v56
	s_nop 1
	v_mov_b32_dpp v67, v56 row_shr:2 row_mask:0xf bank_mask:0xf
	v_cndmask_b32_e64 v67, 0, v67, s[24:25]
	v_add_u32_e32 v56, v56, v67
	ds_write_b32 v20, v56 offset:8160
.LBB10_14:                              ;   in Loop: Header=BB10_4 Depth=1
	s_or_b64 exec, exec, s[26:27]
	v_mov_b32_e32 v56, 0
	s_waitcnt lgkmcnt(0)
	s_barrier
	s_and_saveexec_b64 s[26:27], s[18:19]
	s_cbranch_execz .LBB10_16
; %bb.15:                               ;   in Loop: Header=BB10_4 Depth=1
	ds_read_b32 v56, v25 offset:8156
.LBB10_16:                              ;   in Loop: Header=BB10_4 Depth=1
	s_or_b64 exec, exec, s[26:27]
	s_waitcnt lgkmcnt(0)
	v_add_u32_e32 v7, v56, v7
	ds_bpermute_b32 v7, v24, v7
	ds_read_b32 v67, v5 offset:8172
	s_cmp_gt_u32 s36, 27
	s_waitcnt lgkmcnt(1)
	v_cndmask_b32_e64 v7, v7, v56, s[20:21]
	s_waitcnt lgkmcnt(0)
	v_lshl_add_u32 v7, v67, 16, v7
	v_add_u32_e32 v12, v7, v12
	v_add_u32_e32 v13, v12, v13
	ds_write2_b32 v23, v7, v12 offset1:1
	v_add_u32_e32 v7, v13, v10
	v_add_u32_e32 v10, v7, v11
	ds_write2_b32 v23, v13, v7 offset0:2 offset1:3
	v_add_u32_e32 v7, v10, v8
	v_add_u32_e32 v8, v7, v9
	;; [unrolled: 1-line block ×3, first 2 shown]
	ds_write2_b32 v23, v10, v7 offset0:4 offset1:5
	ds_write2_b32 v23, v8, v6 offset0:6 offset1:7
	s_waitcnt lgkmcnt(0)
	s_barrier
	ds_read_u16 v6, v16
	ds_read_u16 v7, v18
	;; [unrolled: 1-line block ×8, first 2 shown]
	s_waitcnt lgkmcnt(7)
	v_add_u32_sdwa v56, v6, v14 dst_sel:DWORD dst_unused:UNUSED_PAD src0_sel:DWORD src1_sel:WORD_0
	s_waitcnt lgkmcnt(6)
	v_add_u32_sdwa v53, v7, v15 dst_sel:DWORD dst_unused:UNUSED_PAD src0_sel:DWORD src1_sel:WORD_0
	;; [unrolled: 2-line block ×7, first 2 shown]
	ds_read_u16 v6, v54
	ds_read_u16 v7, v57
	;; [unrolled: 1-line block ×7, first 2 shown]
	s_waitcnt lgkmcnt(7)
	v_add_u32_sdwa v42, v13, v51 dst_sel:DWORD dst_unused:UNUSED_PAD src0_sel:DWORD src1_sel:WORD_0
	s_waitcnt lgkmcnt(6)
	v_add_u32_sdwa v58, v6, v49 dst_sel:DWORD dst_unused:UNUSED_PAD src0_sel:DWORD src1_sel:WORD_0
	;; [unrolled: 2-line block ×8, first 2 shown]
	s_cbranch_scc0 .LBB10_3
; %bb.17:
                                        ; implicit-def: $vgpr45
                                        ; implicit-def: $vgpr19
                                        ; implicit-def: $vgpr17
                                        ; implicit-def: $vgpr15
                                        ; implicit-def: $vgpr13
                                        ; implicit-def: $vgpr11
                                        ; implicit-def: $vgpr9
                                        ; implicit-def: $vgpr7
                                        ; implicit-def: $sgpr36
.LBB10_18:
	v_lshlrev_b32_e32 v1, 2, v56
	s_barrier
	ds_write_b32 v1, v41
	v_lshlrev_b32_e32 v1, 2, v53
	ds_write_b32 v1, v40
	v_lshlrev_b32_e32 v1, 2, v50
	;; [unrolled: 2-line block ×14, first 2 shown]
	ds_write_b32 v1, v26
	s_waitcnt lgkmcnt(0)
	s_barrier
	ds_read2_b32 v[4:5], v22 offset1:1
	ds_read2_b32 v[6:7], v22 offset0:2 offset1:3
	ds_read2_b32 v[8:9], v22 offset0:4 offset1:5
	;; [unrolled: 1-line block ×6, first 2 shown]
	ds_read_b32 v1, v22 offset:56
	s_waitcnt lgkmcnt(0)
	s_barrier
	s_and_saveexec_b64 s[2:3], s[0:1]
	s_cbranch_execz .LBB10_20
; %bb.19:
	v_mov_b32_e32 v3, 0xef1
	v_add_u32_e32 v18, 0x7f8, v20
	ds_write2_b32 v18, v3, v3 offset1:255
.LBB10_20:
	s_or_b64 exec, exec, s[2:3]
	v_cmp_ne_u32_e32 vcc, v17, v1
	v_lshlrev_b32_e32 v3, 2, v17
	s_waitcnt lgkmcnt(0)
	s_barrier
	ds_write_b32 v20, v1
	s_and_saveexec_b64 s[2:3], vcc
	s_cbranch_execz .LBB10_22
; %bb.21:
	v_add_u32_e32 v18, 14, v21
	v_lshlrev_b32_e32 v1, 2, v1
	ds_write_b32 v1, v18 offset:2040
	ds_write_b32 v3, v18 offset:3060
.LBB10_22:
	s_or_b64 exec, exec, s[2:3]
	v_cmp_ne_u32_e32 vcc, v16, v17
	v_lshlrev_b32_e32 v1, 2, v16
	s_and_saveexec_b64 s[2:3], vcc
	s_cbranch_execz .LBB10_24
; %bb.23:
	v_add_u32_e32 v17, 13, v21
	ds_write_b32 v3, v17 offset:2040
	ds_write_b32 v1, v17 offset:3060
.LBB10_24:
	s_or_b64 exec, exec, s[2:3]
	v_cmp_ne_u32_e32 vcc, v15, v16
	v_lshlrev_b32_e32 v3, 2, v15
	s_and_saveexec_b64 s[2:3], vcc
	s_cbranch_execz .LBB10_26
; %bb.25:
	v_add_u32_e32 v16, 12, v21
	ds_write_b32 v1, v16 offset:2040
	ds_write_b32 v3, v16 offset:3060
.LBB10_26:
	;; [unrolled: 10-line block ×13, first 2 shown]
	s_or_b64 exec, exec, s[2:3]
	v_cmp_eq_u32_e32 vcc, 0, v0
	v_cmp_ne_u32_e64 s[2:3], 0, v0
	s_waitcnt lgkmcnt(0)
	s_barrier
	s_and_saveexec_b64 s[4:5], s[2:3]
	s_cbranch_execz .LBB10_51
; %bb.49:
	v_add_u32_e32 v0, -4, v20
	ds_read_b32 v3, v0
	s_waitcnt lgkmcnt(0)
	v_cmp_ne_u32_e64 s[2:3], v3, v4
	s_and_b64 exec, exec, s[2:3]
	s_cbranch_execz .LBB10_51
; %bb.50:
	ds_write_b32 v1, v21 offset:2040
	ds_read_b32 v0, v0
	s_waitcnt lgkmcnt(0)
	v_lshlrev_b32_e32 v0, 2, v0
	ds_write_b32 v0, v21 offset:3060
.LBB10_51:
	s_or_b64 exec, exec, s[4:5]
	s_waitcnt lgkmcnt(0)
	s_barrier
	s_and_saveexec_b64 s[2:3], vcc
	s_cbranch_execz .LBB10_53
; %bb.52:
	v_mov_b32_e32 v0, 0
	ds_write_b32 v1, v0 offset:2040
.LBB10_53:
	s_or_b64 exec, exec, s[2:3]
	s_waitcnt lgkmcnt(0)
	s_barrier
	s_and_saveexec_b64 s[2:3], s[0:1]
	s_cbranch_execz .LBB10_55
; %bb.54:
	v_add_u32_e32 v0, 0x7f8, v20
	ds_read2_b32 v[0:1], v0 offset1:255
	ds_read_b32 v3, v20 offset:15312
	s_waitcnt lgkmcnt(1)
	v_sub_u32_e32 v0, v1, v0
	s_waitcnt lgkmcnt(0)
	v_add_u32_e32 v0, v0, v3
	ds_write_b32 v20, v0 offset:15312
.LBB10_55:
	s_or_b64 exec, exec, s[2:3]
	s_waitcnt lgkmcnt(0)
	s_barrier
	s_and_saveexec_b64 s[2:3], s[0:1]
	s_cbranch_execz .LBB10_57
; %bb.56:
	v_mov_b32_e32 v3, 0
	v_lshlrev_b64 v[0:1], 2, v[2:3]
	ds_read_b32 v3, v20 offset:15312
	v_mov_b32_e32 v2, s31
	v_add_co_u32_e32 v0, vcc, s30, v0
	v_addc_co_u32_e32 v1, vcc, v2, v1, vcc
	s_waitcnt lgkmcnt(0)
	global_store_dword v[0:1], v3, off
.LBB10_57:
	s_endpgm
	.section	.rodata,"a",@progbits
	.p2align	6, 0x0
	.amdhsa_kernel _Z16histogram_kernelILj255ELj15ELj255ELN6hipcub23BlockHistogramAlgorithmE1EjEvPT3_S3_
		.amdhsa_group_segment_fixed_size 16332
		.amdhsa_private_segment_fixed_size 0
		.amdhsa_kernarg_size 16
		.amdhsa_user_sgpr_count 6
		.amdhsa_user_sgpr_private_segment_buffer 1
		.amdhsa_user_sgpr_dispatch_ptr 0
		.amdhsa_user_sgpr_queue_ptr 0
		.amdhsa_user_sgpr_kernarg_segment_ptr 1
		.amdhsa_user_sgpr_dispatch_id 0
		.amdhsa_user_sgpr_flat_scratch_init 0
		.amdhsa_user_sgpr_kernarg_preload_length 0
		.amdhsa_user_sgpr_kernarg_preload_offset 0
		.amdhsa_user_sgpr_private_segment_size 0
		.amdhsa_uses_dynamic_stack 0
		.amdhsa_system_sgpr_private_segment_wavefront_offset 0
		.amdhsa_system_sgpr_workgroup_id_x 1
		.amdhsa_system_sgpr_workgroup_id_y 0
		.amdhsa_system_sgpr_workgroup_id_z 0
		.amdhsa_system_sgpr_workgroup_info 0
		.amdhsa_system_vgpr_workitem_id 0
		.amdhsa_next_free_vgpr 68
		.amdhsa_next_free_sgpr 38
		.amdhsa_accum_offset 68
		.amdhsa_reserve_vcc 1
		.amdhsa_reserve_flat_scratch 0
		.amdhsa_float_round_mode_32 0
		.amdhsa_float_round_mode_16_64 0
		.amdhsa_float_denorm_mode_32 3
		.amdhsa_float_denorm_mode_16_64 3
		.amdhsa_dx10_clamp 1
		.amdhsa_ieee_mode 1
		.amdhsa_fp16_overflow 0
		.amdhsa_tg_split 0
		.amdhsa_exception_fp_ieee_invalid_op 0
		.amdhsa_exception_fp_denorm_src 0
		.amdhsa_exception_fp_ieee_div_zero 0
		.amdhsa_exception_fp_ieee_overflow 0
		.amdhsa_exception_fp_ieee_underflow 0
		.amdhsa_exception_fp_ieee_inexact 0
		.amdhsa_exception_int_div_zero 0
	.end_amdhsa_kernel
	.section	.text._Z16histogram_kernelILj255ELj15ELj255ELN6hipcub23BlockHistogramAlgorithmE1EjEvPT3_S3_,"axG",@progbits,_Z16histogram_kernelILj255ELj15ELj255ELN6hipcub23BlockHistogramAlgorithmE1EjEvPT3_S3_,comdat
.Lfunc_end10:
	.size	_Z16histogram_kernelILj255ELj15ELj255ELN6hipcub23BlockHistogramAlgorithmE1EjEvPT3_S3_, .Lfunc_end10-_Z16histogram_kernelILj255ELj15ELj255ELN6hipcub23BlockHistogramAlgorithmE1EjEvPT3_S3_
                                        ; -- End function
	.section	.AMDGPU.csdata,"",@progbits
; Kernel info:
; codeLenInByte = 4084
; NumSgprs: 42
; NumVgprs: 68
; NumAgprs: 0
; TotalNumVgprs: 68
; ScratchSize: 0
; MemoryBound: 0
; FloatMode: 240
; IeeeMode: 1
; LDSByteSize: 16332 bytes/workgroup (compile time only)
; SGPRBlocks: 5
; VGPRBlocks: 8
; NumSGPRsForWavesPerEU: 42
; NumVGPRsForWavesPerEU: 68
; AccumOffset: 68
; Occupancy: 4
; WaveLimiterHint : 0
; COMPUTE_PGM_RSRC2:SCRATCH_EN: 0
; COMPUTE_PGM_RSRC2:USER_SGPR: 6
; COMPUTE_PGM_RSRC2:TRAP_HANDLER: 0
; COMPUTE_PGM_RSRC2:TGID_X_EN: 1
; COMPUTE_PGM_RSRC2:TGID_Y_EN: 0
; COMPUTE_PGM_RSRC2:TGID_Z_EN: 0
; COMPUTE_PGM_RSRC2:TIDIG_COMP_CNT: 0
; COMPUTE_PGM_RSRC3_GFX90A:ACCUM_OFFSET: 16
; COMPUTE_PGM_RSRC3_GFX90A:TG_SPLIT: 0
	.section	.text._Z16histogram_kernelILj162ELj7ELj162ELN6hipcub23BlockHistogramAlgorithmE1EjEvPT3_S3_,"axG",@progbits,_Z16histogram_kernelILj162ELj7ELj162ELN6hipcub23BlockHistogramAlgorithmE1EjEvPT3_S3_,comdat
	.protected	_Z16histogram_kernelILj162ELj7ELj162ELN6hipcub23BlockHistogramAlgorithmE1EjEvPT3_S3_ ; -- Begin function _Z16histogram_kernelILj162ELj7ELj162ELN6hipcub23BlockHistogramAlgorithmE1EjEvPT3_S3_
	.globl	_Z16histogram_kernelILj162ELj7ELj162ELN6hipcub23BlockHistogramAlgorithmE1EjEvPT3_S3_
	.p2align	8
	.type	_Z16histogram_kernelILj162ELj7ELj162ELN6hipcub23BlockHistogramAlgorithmE1EjEvPT3_S3_,@function
_Z16histogram_kernelILj162ELj7ELj162ELN6hipcub23BlockHistogramAlgorithmE1EjEvPT3_S3_: ; @_Z16histogram_kernelILj162ELj7ELj162ELN6hipcub23BlockHistogramAlgorithmE1EjEvPT3_S3_
; %bb.0:
	s_load_dwordx4 s[28:31], s[4:5], 0x0
	s_mulk_i32 s6, 0xa2
	v_add_u32_e32 v2, s6, v0
	v_mul_lo_u32 v4, v2, 7
	v_mov_b32_e32 v5, 0
	v_lshlrev_b64 v[6:7], 2, v[4:5]
	s_waitcnt lgkmcnt(0)
	v_mov_b32_e32 v1, s29
	v_add_co_u32_e32 v14, vcc, s28, v6
	v_addc_co_u32_e32 v15, vcc, v1, v7, vcc
	v_add_u32_e32 v6, 1, v4
	v_mov_b32_e32 v7, v5
	v_lshlrev_b64 v[6:7], 2, v[6:7]
	v_add_co_u32_e32 v16, vcc, s28, v6
	v_addc_co_u32_e32 v17, vcc, v1, v7, vcc
	v_add_u32_e32 v6, 2, v4
	v_mov_b32_e32 v7, v5
	v_lshlrev_b64 v[6:7], 2, v[6:7]
	;; [unrolled: 5-line block ×5, first 2 shown]
	v_add_co_u32_e32 v24, vcc, s28, v6
	v_add_u32_e32 v4, 6, v4
	v_addc_co_u32_e32 v25, vcc, v1, v7, vcc
	v_lshlrev_b64 v[6:7], 2, v[4:5]
	v_add_co_u32_e32 v26, vcc, s28, v6
	v_addc_co_u32_e32 v27, vcc, v1, v7, vcc
	global_load_dword v6, v[14:15], off
	global_load_dword v7, v[16:17], off
	;; [unrolled: 1-line block ×7, first 2 shown]
	s_movk_i32 s33, 0xa2
	s_mov_b32 s36, 0
	v_cmp_gt_u32_e64 s[0:1], s33, v0
	v_lshlrev_b32_e32 v14, 2, v0
	s_and_saveexec_b64 s[2:3], s[0:1]
	s_cbranch_execz .LBB11_2
; %bb.1:
	ds_write_b32 v14, v5 offset:5200
.LBB11_2:
	s_or_b64 exec, exec, s[2:3]
	v_mbcnt_lo_u32_b32 v1, -1, 0
	v_mbcnt_hi_u32_b32 v1, -1, v1
	v_and_b32_e32 v3, 15, v1
	v_cmp_eq_u32_e64 s[2:3], 0, v3
	v_cmp_lt_u32_e64 s[4:5], 1, v3
	v_cmp_lt_u32_e64 s[6:7], 3, v3
	;; [unrolled: 1-line block ×3, first 2 shown]
	v_and_b32_e32 v3, 16, v1
	v_cmp_eq_u32_e64 s[10:11], 0, v3
	v_and_b32_e32 v3, 0xc0, v0
	v_min_u32_e32 v3, 0x62, v3
	v_add_u32_e32 v3, 63, v3
	v_cmp_eq_u32_e64 s[14:15], v3, v0
	v_add_u32_e32 v3, -1, v1
	v_and_b32_e32 v4, 64, v1
	v_cmp_lt_i32_e32 vcc, v3, v4
	v_cmp_lt_u32_e64 s[12:13], 31, v1
	v_cndmask_b32_e32 v3, v3, v1, vcc
	v_cmp_eq_u32_e64 s[20:21], 0, v1
	v_and_b32_e32 v1, 3, v1
	v_cmp_eq_u32_e64 s[22:23], 0, v1
	v_cmp_lt_u32_e64 s[24:25], 1, v1
	v_sub_u32_e32 v1, 0x46d, v0
	s_mov_b32 s26, 0x1948b10
	v_lshlrev_b32_e32 v18, 2, v3
	v_lshrrev_b32_e32 v3, 4, v0
	v_mul_hi_u32 v1, v1, s26
	v_and_b32_e32 v19, 12, v3
	v_mul_u32_u24_e32 v15, 7, v0
	v_add_u32_e32 v3, 3, v1
	v_add_u32_e32 v4, 1, v1
	v_lshlrev_b32_e32 v16, 5, v0
	v_cmp_gt_u32_e64 s[16:17], 3, v0
	v_cmp_lt_u32_e64 s[18:19], 63, v0
	v_lshlrev_b32_e32 v17, 2, v15
	v_and_b32_e32 v21, 30, v3
	v_add_u32_e32 v1, 0xa2, v0
	v_mov_b32_e32 v3, v4
	s_waitcnt lgkmcnt(0)
	s_barrier
	s_branch .LBB11_4
.LBB11_3:                               ;   in Loop: Header=BB11_4 Depth=1
	v_lshlrev_b32_e32 v6, 2, v34
	s_barrier
	ds_write_b32 v6, v27
	v_lshlrev_b32_e32 v6, 2, v32
	ds_write_b32 v6, v26
	v_lshlrev_b32_e32 v6, 2, v31
	;; [unrolled: 2-line block ×6, first 2 shown]
	ds_write_b32 v6, v20
	s_waitcnt lgkmcnt(0)
	s_barrier
	ds_read2_b32 v[6:7], v17 offset1:1
	ds_read2_b32 v[8:9], v17 offset0:2 offset1:3
	ds_read2_b32 v[10:11], v17 offset0:4 offset1:5
	ds_read_b32 v12, v17 offset:24
	s_add_i32 s36, s36, 4
	s_waitcnt lgkmcnt(0)
	s_barrier
	s_cbranch_execz .LBB11_18
.LBB11_4:                               ; =>This Loop Header: Depth=1
                                        ;     Child Loop BB11_6 Depth 2
	s_waitcnt vmcnt(0)
	v_mov_b32_e32 v20, v12
	v_mov_b32_e32 v22, v11
	v_mov_b32_e32 v23, v10
	v_mov_b32_e32 v24, v9
	v_mov_b32_e32 v25, v8
	v_mov_b32_e32 v26, v7
	v_mov_b32_e32 v27, v6
	s_mov_b32 s37, 0
	s_mov_b64 s[28:29], 0
	v_pk_mov_b32 v[6:7], v[0:1], v[0:1] op_sel:[0,1]
	s_branch .LBB11_6
.LBB11_5:                               ;   in Loop: Header=BB11_6 Depth=2
	s_or_b64 exec, exec, s[26:27]
	s_add_i32 s37, s37, 2
	v_cmp_eq_u32_e32 vcc, s37, v21
	v_add_u32_e32 v7, 0x144, v7
	s_or_b64 s[28:29], vcc, s[28:29]
	v_add_u32_e32 v6, 0x144, v6
	s_andn2_b64 exec, exec, s[28:29]
	s_cbranch_execz .LBB11_10
.LBB11_6:                               ;   Parent Loop BB11_4 Depth=1
                                        ; =>  This Inner Loop Header: Depth=2
	s_or_b32 s26, s37, 1
	v_cmp_le_u32_e32 vcc, s26, v3
	v_cmp_le_u32_e64 s[26:27], s37, v4
	s_and_saveexec_b64 s[34:35], s[26:27]
	s_cbranch_execz .LBB11_8
; %bb.7:                                ;   in Loop: Header=BB11_6 Depth=2
	v_lshlrev_b32_e32 v8, 2, v6
	ds_write_b32 v8, v5
.LBB11_8:                               ;   in Loop: Header=BB11_6 Depth=2
	s_or_b64 exec, exec, s[34:35]
	s_and_saveexec_b64 s[26:27], vcc
	s_cbranch_execz .LBB11_5
; %bb.9:                                ;   in Loop: Header=BB11_6 Depth=2
	v_lshlrev_b32_e32 v8, 2, v7
	ds_write_b32 v8, v5
	s_branch .LBB11_5
.LBB11_10:                              ;   in Loop: Header=BB11_4 Depth=1
	s_or_b64 exec, exec, s[28:29]
	v_lshrrev_b32_e32 v6, s36, v27
	v_bfe_u32 v7, v27, s36, 3
	v_lshrrev_b32_e32 v6, 2, v6
	v_mad_u32_u24 v7, v7, s33, v0
	v_and_b32_e32 v6, 2, v6
	v_lshl_or_b32 v30, v7, 2, v6
	ds_read_u16 v28, v30
	v_lshrrev_b32_e32 v6, s36, v26
	v_bfe_u32 v7, v26, s36, 3
	v_lshrrev_b32_e32 v6, 2, v6
	v_mad_u32_u24 v7, v7, s33, v0
	s_waitcnt lgkmcnt(0)
	v_add_u16_e32 v8, 1, v28
	v_and_b32_e32 v6, 2, v6
	ds_write_b16 v30, v8
	v_lshl_or_b32 v32, v7, 2, v6
	ds_read_u16 v29, v32
	v_bfe_u32 v7, v25, s36, 3
	v_mad_u32_u24 v7, v7, s33, v0
	s_waitcnt lgkmcnt(0)
	v_add_u16_e32 v6, 1, v29
	ds_write_b16 v32, v6
	v_lshrrev_b32_e32 v6, s36, v25
	v_lshrrev_b32_e32 v6, 2, v6
	v_and_b32_e32 v6, 2, v6
	v_lshl_or_b32 v34, v7, 2, v6
	ds_read_u16 v31, v34
	v_bfe_u32 v7, v24, s36, 3
	v_mad_u32_u24 v7, v7, s33, v0
	s_waitcnt lgkmcnt(0)
	v_add_u16_e32 v6, 1, v31
	ds_write_b16 v34, v6
	v_lshrrev_b32_e32 v6, s36, v24
	v_lshrrev_b32_e32 v6, 2, v6
	v_and_b32_e32 v6, 2, v6
	v_lshl_or_b32 v36, v7, 2, v6
	ds_read_u16 v33, v36
	v_bfe_u32 v7, v23, s36, 3
	v_mad_u32_u24 v7, v7, s33, v0
	s_waitcnt lgkmcnt(0)
	v_add_u16_e32 v6, 1, v33
	ds_write_b16 v36, v6
	v_lshrrev_b32_e32 v6, s36, v23
	v_lshrrev_b32_e32 v6, 2, v6
	v_and_b32_e32 v6, 2, v6
	v_lshl_or_b32 v37, v7, 2, v6
	ds_read_u16 v35, v37
	v_bfe_u32 v7, v22, s36, 3
	v_mad_u32_u24 v7, v7, s33, v0
	s_waitcnt lgkmcnt(0)
	v_add_u16_e32 v6, 1, v35
	ds_write_b16 v37, v6
	v_lshrrev_b32_e32 v6, s36, v22
	v_lshrrev_b32_e32 v6, 2, v6
	v_and_b32_e32 v6, 2, v6
	v_lshl_or_b32 v40, v7, 2, v6
	ds_read_u16 v38, v40
	v_bfe_u32 v7, v20, s36, 3
	v_mad_u32_u24 v7, v7, s33, v0
	s_waitcnt lgkmcnt(0)
	v_add_u16_e32 v6, 1, v38
	ds_write_b16 v40, v6
	v_lshrrev_b32_e32 v6, s36, v20
	v_lshrrev_b32_e32 v6, 2, v6
	v_and_b32_e32 v6, 2, v6
	v_lshl_or_b32 v41, v7, 2, v6
	ds_read_u16 v39, v41
	s_waitcnt lgkmcnt(0)
	v_add_u16_e32 v6, 1, v39
	ds_write_b16 v41, v6
	s_waitcnt lgkmcnt(0)
	s_barrier
	ds_read2_b32 v[12:13], v16 offset1:1
	ds_read2_b32 v[10:11], v16 offset0:2 offset1:3
	ds_read2_b32 v[8:9], v16 offset0:4 offset1:5
	;; [unrolled: 1-line block ×3, first 2 shown]
	s_waitcnt lgkmcnt(3)
	v_add_u32_e32 v42, v13, v12
	s_waitcnt lgkmcnt(2)
	v_add3_u32 v42, v42, v10, v11
	s_waitcnt lgkmcnt(1)
	v_add3_u32 v42, v42, v8, v9
	;; [unrolled: 2-line block ×3, first 2 shown]
	s_nop 1
	v_mov_b32_dpp v42, v7 row_shr:1 row_mask:0xf bank_mask:0xf
	v_cndmask_b32_e64 v42, v42, 0, s[2:3]
	v_add_u32_e32 v7, v42, v7
	s_nop 1
	v_mov_b32_dpp v42, v7 row_shr:2 row_mask:0xf bank_mask:0xf
	v_cndmask_b32_e64 v42, 0, v42, s[4:5]
	v_add_u32_e32 v7, v7, v42
	;; [unrolled: 4-line block ×4, first 2 shown]
	s_nop 1
	v_mov_b32_dpp v42, v7 row_bcast:15 row_mask:0xf bank_mask:0xf
	v_cndmask_b32_e64 v42, v42, 0, s[10:11]
	v_add_u32_e32 v7, v7, v42
	s_nop 1
	v_mov_b32_dpp v42, v7 row_bcast:31 row_mask:0xf bank_mask:0xf
	v_cndmask_b32_e64 v42, 0, v42, s[12:13]
	v_add_u32_e32 v7, v7, v42
	s_and_saveexec_b64 s[26:27], s[14:15]
	s_cbranch_execz .LBB11_12
; %bb.11:                               ;   in Loop: Header=BB11_4 Depth=1
	ds_write_b32 v19, v7 offset:5184
.LBB11_12:                              ;   in Loop: Header=BB11_4 Depth=1
	s_or_b64 exec, exec, s[26:27]
	s_waitcnt lgkmcnt(0)
	s_barrier
	s_and_saveexec_b64 s[26:27], s[16:17]
	s_cbranch_execz .LBB11_14
; %bb.13:                               ;   in Loop: Header=BB11_4 Depth=1
	ds_read_b32 v42, v14 offset:5184
	s_waitcnt lgkmcnt(0)
	s_nop 0
	v_mov_b32_dpp v43, v42 row_shr:1 row_mask:0xf bank_mask:0xf
	v_cndmask_b32_e64 v43, v43, 0, s[22:23]
	v_add_u32_e32 v42, v43, v42
	s_nop 1
	v_mov_b32_dpp v43, v42 row_shr:2 row_mask:0xf bank_mask:0xf
	v_cndmask_b32_e64 v43, 0, v43, s[24:25]
	v_add_u32_e32 v42, v42, v43
	ds_write_b32 v14, v42 offset:5184
.LBB11_14:                              ;   in Loop: Header=BB11_4 Depth=1
	s_or_b64 exec, exec, s[26:27]
	v_mov_b32_e32 v42, 0
	s_waitcnt lgkmcnt(0)
	s_barrier
	s_and_saveexec_b64 s[26:27], s[18:19]
	s_cbranch_execz .LBB11_16
; %bb.15:                               ;   in Loop: Header=BB11_4 Depth=1
	ds_read_b32 v42, v19 offset:5180
.LBB11_16:                              ;   in Loop: Header=BB11_4 Depth=1
	s_or_b64 exec, exec, s[26:27]
	s_waitcnt lgkmcnt(0)
	v_add_u32_e32 v7, v42, v7
	ds_bpermute_b32 v7, v18, v7
	ds_read_b32 v43, v5 offset:5192
	s_cmp_gt_u32 s36, 27
	s_waitcnt lgkmcnt(1)
	v_cndmask_b32_e64 v7, v7, v42, s[20:21]
	s_waitcnt lgkmcnt(0)
	v_lshl_add_u32 v7, v43, 16, v7
	v_add_u32_e32 v12, v7, v12
	v_add_u32_e32 v13, v12, v13
	ds_write2_b32 v16, v7, v12 offset1:1
	v_add_u32_e32 v7, v13, v10
	v_add_u32_e32 v10, v7, v11
	ds_write2_b32 v16, v13, v7 offset0:2 offset1:3
	v_add_u32_e32 v7, v10, v8
	v_add_u32_e32 v8, v7, v9
	;; [unrolled: 1-line block ×3, first 2 shown]
	ds_write2_b32 v16, v10, v7 offset0:4 offset1:5
	ds_write2_b32 v16, v8, v6 offset0:6 offset1:7
	s_waitcnt lgkmcnt(0)
	s_barrier
	ds_read_u16 v6, v30
	ds_read_u16 v7, v32
	;; [unrolled: 1-line block ×7, first 2 shown]
	s_waitcnt lgkmcnt(6)
	v_add_u32_sdwa v34, v6, v28 dst_sel:DWORD dst_unused:UNUSED_PAD src0_sel:DWORD src1_sel:WORD_0
	s_waitcnt lgkmcnt(5)
	v_add_u32_sdwa v32, v7, v29 dst_sel:DWORD dst_unused:UNUSED_PAD src0_sel:DWORD src1_sel:WORD_0
	;; [unrolled: 2-line block ×7, first 2 shown]
	s_cbranch_scc0 .LBB11_3
; %bb.17:
                                        ; implicit-def: $vgpr12
                                        ; implicit-def: $vgpr11
                                        ; implicit-def: $vgpr9
                                        ; implicit-def: $vgpr7
                                        ; implicit-def: $sgpr36
.LBB11_18:
	v_lshlrev_b32_e32 v1, 2, v34
	s_barrier
	ds_write_b32 v1, v27
	v_lshlrev_b32_e32 v1, 2, v32
	ds_write_b32 v1, v26
	v_lshlrev_b32_e32 v1, 2, v31
	;; [unrolled: 2-line block ×6, first 2 shown]
	ds_write_b32 v1, v20
	s_waitcnt lgkmcnt(0)
	s_barrier
	ds_read2_b32 v[4:5], v17 offset1:1
	ds_read2_b32 v[6:7], v17 offset0:2 offset1:3
	ds_read2_b32 v[8:9], v17 offset0:4 offset1:5
	ds_read_b32 v1, v17 offset:24
	s_waitcnt lgkmcnt(0)
	s_barrier
	s_and_saveexec_b64 s[2:3], s[0:1]
	s_cbranch_execz .LBB11_20
; %bb.19:
	v_mov_b32_e32 v3, 0x46e
	v_add_u32_e32 v10, 0x400, v14
	ds_write2_b32 v10, v3, v3 offset0:68 offset1:230
.LBB11_20:
	s_or_b64 exec, exec, s[2:3]
	v_cmp_ne_u32_e32 vcc, v9, v1
	v_lshlrev_b32_e32 v3, 2, v9
	s_waitcnt lgkmcnt(0)
	s_barrier
	ds_write_b32 v14, v1
	s_and_saveexec_b64 s[2:3], vcc
	s_cbranch_execz .LBB11_22
; %bb.21:
	v_add_u32_e32 v10, 6, v15
	v_lshlrev_b32_e32 v1, 2, v1
	ds_write_b32 v1, v10 offset:1296
	ds_write_b32 v3, v10 offset:1944
.LBB11_22:
	s_or_b64 exec, exec, s[2:3]
	v_cmp_ne_u32_e32 vcc, v8, v9
	v_lshlrev_b32_e32 v1, 2, v8
	s_and_saveexec_b64 s[2:3], vcc
	s_cbranch_execz .LBB11_24
; %bb.23:
	v_add_u32_e32 v9, 5, v15
	ds_write_b32 v3, v9 offset:1296
	ds_write_b32 v1, v9 offset:1944
.LBB11_24:
	s_or_b64 exec, exec, s[2:3]
	v_cmp_ne_u32_e32 vcc, v7, v8
	v_lshlrev_b32_e32 v3, 2, v7
	s_and_saveexec_b64 s[2:3], vcc
	s_cbranch_execz .LBB11_26
; %bb.25:
	v_add_u32_e32 v8, 4, v15
	ds_write_b32 v1, v8 offset:1296
	ds_write_b32 v3, v8 offset:1944
.LBB11_26:
	;; [unrolled: 10-line block ×5, first 2 shown]
	s_or_b64 exec, exec, s[2:3]
	v_cmp_eq_u32_e32 vcc, 0, v0
	v_cmp_ne_u32_e64 s[2:3], 0, v0
	s_waitcnt lgkmcnt(0)
	s_barrier
	s_and_saveexec_b64 s[4:5], s[2:3]
	s_cbranch_execz .LBB11_35
; %bb.33:
	v_add_u32_e32 v0, -4, v14
	ds_read_b32 v3, v0
	s_waitcnt lgkmcnt(0)
	v_cmp_ne_u32_e64 s[2:3], v3, v4
	s_and_b64 exec, exec, s[2:3]
	s_cbranch_execz .LBB11_35
; %bb.34:
	ds_write_b32 v1, v15 offset:1296
	ds_read_b32 v0, v0
	s_waitcnt lgkmcnt(0)
	v_lshlrev_b32_e32 v0, 2, v0
	ds_write_b32 v0, v15 offset:1944
.LBB11_35:
	s_or_b64 exec, exec, s[4:5]
	s_waitcnt lgkmcnt(0)
	s_barrier
	s_and_saveexec_b64 s[2:3], vcc
	s_cbranch_execz .LBB11_37
; %bb.36:
	v_mov_b32_e32 v0, 0
	ds_write_b32 v1, v0 offset:1296
.LBB11_37:
	s_or_b64 exec, exec, s[2:3]
	s_waitcnt lgkmcnt(0)
	s_barrier
	s_and_saveexec_b64 s[2:3], s[0:1]
	s_cbranch_execz .LBB11_39
; %bb.38:
	v_add_u32_e32 v0, 0x400, v14
	ds_read2_b32 v[0:1], v0 offset0:68 offset1:230
	ds_read_b32 v3, v14 offset:5200
	s_waitcnt lgkmcnt(1)
	v_sub_u32_e32 v0, v1, v0
	s_waitcnt lgkmcnt(0)
	v_add_u32_e32 v0, v0, v3
	ds_write_b32 v14, v0 offset:5200
.LBB11_39:
	s_or_b64 exec, exec, s[2:3]
	s_waitcnt lgkmcnt(0)
	s_barrier
	s_and_saveexec_b64 s[2:3], s[0:1]
	s_cbranch_execz .LBB11_41
; %bb.40:
	v_mov_b32_e32 v3, 0
	v_lshlrev_b64 v[0:1], 2, v[2:3]
	ds_read_b32 v3, v14 offset:5200
	v_mov_b32_e32 v2, s31
	v_add_co_u32_e32 v0, vcc, s30, v0
	v_addc_co_u32_e32 v1, vcc, v2, v1, vcc
	s_waitcnt lgkmcnt(0)
	global_store_dword v[0:1], v3, off
.LBB11_41:
	s_endpgm
	.section	.rodata,"a",@progbits
	.p2align	6, 0x0
	.amdhsa_kernel _Z16histogram_kernelILj162ELj7ELj162ELN6hipcub23BlockHistogramAlgorithmE1EjEvPT3_S3_
		.amdhsa_group_segment_fixed_size 5848
		.amdhsa_private_segment_fixed_size 0
		.amdhsa_kernarg_size 16
		.amdhsa_user_sgpr_count 6
		.amdhsa_user_sgpr_private_segment_buffer 1
		.amdhsa_user_sgpr_dispatch_ptr 0
		.amdhsa_user_sgpr_queue_ptr 0
		.amdhsa_user_sgpr_kernarg_segment_ptr 1
		.amdhsa_user_sgpr_dispatch_id 0
		.amdhsa_user_sgpr_flat_scratch_init 0
		.amdhsa_user_sgpr_kernarg_preload_length 0
		.amdhsa_user_sgpr_kernarg_preload_offset 0
		.amdhsa_user_sgpr_private_segment_size 0
		.amdhsa_uses_dynamic_stack 0
		.amdhsa_system_sgpr_private_segment_wavefront_offset 0
		.amdhsa_system_sgpr_workgroup_id_x 1
		.amdhsa_system_sgpr_workgroup_id_y 0
		.amdhsa_system_sgpr_workgroup_id_z 0
		.amdhsa_system_sgpr_workgroup_info 0
		.amdhsa_system_vgpr_workitem_id 0
		.amdhsa_next_free_vgpr 44
		.amdhsa_next_free_sgpr 38
		.amdhsa_accum_offset 44
		.amdhsa_reserve_vcc 1
		.amdhsa_reserve_flat_scratch 0
		.amdhsa_float_round_mode_32 0
		.amdhsa_float_round_mode_16_64 0
		.amdhsa_float_denorm_mode_32 3
		.amdhsa_float_denorm_mode_16_64 3
		.amdhsa_dx10_clamp 1
		.amdhsa_ieee_mode 1
		.amdhsa_fp16_overflow 0
		.amdhsa_tg_split 0
		.amdhsa_exception_fp_ieee_invalid_op 0
		.amdhsa_exception_fp_denorm_src 0
		.amdhsa_exception_fp_ieee_div_zero 0
		.amdhsa_exception_fp_ieee_overflow 0
		.amdhsa_exception_fp_ieee_underflow 0
		.amdhsa_exception_fp_ieee_inexact 0
		.amdhsa_exception_int_div_zero 0
	.end_amdhsa_kernel
	.section	.text._Z16histogram_kernelILj162ELj7ELj162ELN6hipcub23BlockHistogramAlgorithmE1EjEvPT3_S3_,"axG",@progbits,_Z16histogram_kernelILj162ELj7ELj162ELN6hipcub23BlockHistogramAlgorithmE1EjEvPT3_S3_,comdat
.Lfunc_end11:
	.size	_Z16histogram_kernelILj162ELj7ELj162ELN6hipcub23BlockHistogramAlgorithmE1EjEvPT3_S3_, .Lfunc_end11-_Z16histogram_kernelILj162ELj7ELj162ELN6hipcub23BlockHistogramAlgorithmE1EjEvPT3_S3_
                                        ; -- End function
	.section	.AMDGPU.csdata,"",@progbits
; Kernel info:
; codeLenInByte = 2580
; NumSgprs: 42
; NumVgprs: 44
; NumAgprs: 0
; TotalNumVgprs: 44
; ScratchSize: 0
; MemoryBound: 0
; FloatMode: 240
; IeeeMode: 1
; LDSByteSize: 5848 bytes/workgroup (compile time only)
; SGPRBlocks: 5
; VGPRBlocks: 5
; NumSGPRsForWavesPerEU: 42
; NumVGPRsForWavesPerEU: 44
; AccumOffset: 44
; Occupancy: 8
; WaveLimiterHint : 0
; COMPUTE_PGM_RSRC2:SCRATCH_EN: 0
; COMPUTE_PGM_RSRC2:USER_SGPR: 6
; COMPUTE_PGM_RSRC2:TRAP_HANDLER: 0
; COMPUTE_PGM_RSRC2:TGID_X_EN: 1
; COMPUTE_PGM_RSRC2:TGID_Y_EN: 0
; COMPUTE_PGM_RSRC2:TGID_Z_EN: 0
; COMPUTE_PGM_RSRC2:TIDIG_COMP_CNT: 0
; COMPUTE_PGM_RSRC3_GFX90A:ACCUM_OFFSET: 10
; COMPUTE_PGM_RSRC3_GFX90A:TG_SPLIT: 0
	.section	.text._Z16histogram_kernelILj65ELj5ELj65ELN6hipcub23BlockHistogramAlgorithmE1EjEvPT3_S3_,"axG",@progbits,_Z16histogram_kernelILj65ELj5ELj65ELN6hipcub23BlockHistogramAlgorithmE1EjEvPT3_S3_,comdat
	.protected	_Z16histogram_kernelILj65ELj5ELj65ELN6hipcub23BlockHistogramAlgorithmE1EjEvPT3_S3_ ; -- Begin function _Z16histogram_kernelILj65ELj5ELj65ELN6hipcub23BlockHistogramAlgorithmE1EjEvPT3_S3_
	.globl	_Z16histogram_kernelILj65ELj5ELj65ELN6hipcub23BlockHistogramAlgorithmE1EjEvPT3_S3_
	.p2align	8
	.type	_Z16histogram_kernelILj65ELj5ELj65ELN6hipcub23BlockHistogramAlgorithmE1EjEvPT3_S3_,@function
_Z16histogram_kernelILj65ELj5ELj65ELN6hipcub23BlockHistogramAlgorithmE1EjEvPT3_S3_: ; @_Z16histogram_kernelILj65ELj5ELj65ELN6hipcub23BlockHistogramAlgorithmE1EjEvPT3_S3_
; %bb.0:
	s_load_dwordx4 s[28:31], s[4:5], 0x0
	s_mulk_i32 s6, 0x41
	v_add_u32_e32 v2, s6, v0
	v_lshl_add_u32 v4, v2, 2, v2
	v_mov_b32_e32 v5, 0
	v_lshlrev_b64 v[6:7], 2, v[4:5]
	s_waitcnt lgkmcnt(0)
	v_mov_b32_e32 v1, s29
	v_add_co_u32_e32 v12, vcc, s28, v6
	v_addc_co_u32_e32 v13, vcc, v1, v7, vcc
	v_add_u32_e32 v6, 1, v4
	v_mov_b32_e32 v7, v5
	v_lshlrev_b64 v[6:7], 2, v[6:7]
	v_add_co_u32_e32 v14, vcc, s28, v6
	v_addc_co_u32_e32 v15, vcc, v1, v7, vcc
	v_add_u32_e32 v6, 2, v4
	v_mov_b32_e32 v7, v5
	v_lshlrev_b64 v[6:7], 2, v[6:7]
	;; [unrolled: 5-line block ×3, first 2 shown]
	v_add_co_u32_e32 v18, vcc, s28, v6
	v_add_u32_e32 v4, 4, v4
	v_addc_co_u32_e32 v19, vcc, v1, v7, vcc
	v_lshlrev_b64 v[6:7], 2, v[4:5]
	v_add_co_u32_e32 v20, vcc, s28, v6
	v_addc_co_u32_e32 v21, vcc, v1, v7, vcc
	global_load_dword v6, v[12:13], off
	global_load_dword v7, v[14:15], off
	;; [unrolled: 1-line block ×5, first 2 shown]
	s_movk_i32 s33, 0x41
	s_mov_b32 s38, 0
	v_cmp_gt_u32_e64 s[0:1], s33, v0
	v_lshlrev_b32_e32 v14, 2, v0
	s_and_saveexec_b64 s[2:3], s[0:1]
	s_cbranch_execz .LBB12_2
; %bb.1:
	ds_write_b32 v14, v5 offset:2096
.LBB12_2:
	s_or_b64 exec, exec, s[2:3]
	v_mbcnt_lo_u32_b32 v1, -1, 0
	v_mbcnt_hi_u32_b32 v1, -1, v1
	v_and_b32_e32 v3, 15, v1
	v_cmp_eq_u32_e64 s[4:5], 0, v3
	v_cmp_lt_u32_e64 s[6:7], 1, v3
	v_cmp_lt_u32_e64 s[8:9], 3, v3
	v_cmp_lt_u32_e64 s[10:11], 7, v3
	v_and_b32_e32 v3, 16, v1
	v_cmp_gt_u32_e32 vcc, 64, v0
	v_cmp_eq_u32_e64 s[12:13], 0, v3
	v_cndmask_b32_e64 v3, 64, 63, vcc
	v_cmp_eq_u32_e64 s[18:19], v3, v0
	v_add_u32_e32 v3, -1, v1
	v_and_b32_e32 v4, 64, v1
	v_cmp_lt_i32_e32 vcc, v3, v4
	v_cmp_lt_u32_e64 s[14:15], 31, v1
	v_cndmask_b32_e32 v3, v3, v1, vcc
	v_cmp_eq_u32_e64 s[22:23], 0, v1
	v_and_b32_e32 v1, 1, v1
	s_movk_i32 s26, 0x1c7
	v_cmp_eq_u32_e64 s[24:25], 0, v1
	v_mov_b32_e32 v1, 0x1c7
	v_cmp_gt_u32_e32 vcc, s26, v0
	v_subb_co_u32_e64 v1, s[26:27], v1, v0, vcc
	s_mov_b32 s26, 0x3f03f04
	v_mul_hi_u32 v1, v1, s26
	s_movk_i32 s2, 0x208
	v_lshlrev_b32_e32 v18, 2, v3
	v_lshrrev_b32_e32 v3, 4, v0
	v_mul_u32_u24_e32 v15, 5, v0
	v_addc_co_u32_e64 v4, s[26:27], 0, v1, vcc
	v_addc_co_u32_e32 v1, vcc, 2, v1, vcc
	v_cmp_gt_u32_e64 s[2:3], s2, v0
	v_lshlrev_b32_e32 v16, 5, v0
	v_cmp_lt_u32_e64 s[16:17], 63, v0
	v_cmp_gt_u32_e64 s[20:21], 2, v0
	v_and_b32_e32 v19, 4, v3
	v_lshlrev_b32_e32 v17, 2, v15
	v_and_b32_e32 v20, 14, v1
	v_add_u32_e32 v1, 0x41, v0
	v_mov_b32_e32 v3, v4
	s_waitcnt lgkmcnt(0)
	s_barrier
	s_branch .LBB12_4
.LBB12_3:                               ;   in Loop: Header=BB12_4 Depth=1
	v_lshlrev_b32_e32 v6, 2, v27
	s_barrier
	ds_write_b32 v6, v25
	v_lshlrev_b32_e32 v6, 2, v26
	ds_write_b32 v6, v24
	v_lshlrev_b32_e32 v6, 2, v12
	;; [unrolled: 2-line block ×4, first 2 shown]
	ds_write_b32 v6, v21
	s_waitcnt lgkmcnt(0)
	s_barrier
	ds_read2_b32 v[6:7], v17 offset1:1
	ds_read2_b32 v[8:9], v17 offset0:2 offset1:3
	ds_read_b32 v10, v17 offset:16
	s_add_i32 s38, s38, 4
	s_waitcnt lgkmcnt(0)
	s_barrier
	s_cbranch_execz .LBB12_19
.LBB12_4:                               ; =>This Loop Header: Depth=1
                                        ;     Child Loop BB12_7 Depth 2
	s_waitcnt vmcnt(0)
	v_mov_b32_e32 v21, v10
	v_mov_b32_e32 v22, v9
	;; [unrolled: 1-line block ×5, first 2 shown]
	s_and_saveexec_b64 s[28:29], s[2:3]
	s_cbranch_execz .LBB12_11
; %bb.5:                                ;   in Loop: Header=BB12_4 Depth=1
	s_mov_b32 s39, 0
	s_mov_b64 s[34:35], 0
	v_pk_mov_b32 v[6:7], v[0:1], v[0:1] op_sel:[0,1]
	s_branch .LBB12_7
.LBB12_6:                               ;   in Loop: Header=BB12_7 Depth=2
	s_or_b64 exec, exec, s[26:27]
	s_add_i32 s39, s39, 2
	v_cmp_eq_u32_e32 vcc, s39, v20
	v_add_u32_e32 v7, 0x82, v7
	s_or_b64 s[34:35], vcc, s[34:35]
	v_add_u32_e32 v6, 0x82, v6
	s_andn2_b64 exec, exec, s[34:35]
	s_cbranch_execz .LBB12_11
.LBB12_7:                               ;   Parent Loop BB12_4 Depth=1
                                        ; =>  This Inner Loop Header: Depth=2
	s_or_b32 s26, s39, 1
	v_cmp_le_u32_e32 vcc, s26, v3
	v_cmp_le_u32_e64 s[26:27], s39, v4
	s_and_saveexec_b64 s[36:37], s[26:27]
	s_cbranch_execz .LBB12_9
; %bb.8:                                ;   in Loop: Header=BB12_7 Depth=2
	v_lshlrev_b32_e32 v8, 2, v6
	ds_write_b32 v8, v5
.LBB12_9:                               ;   in Loop: Header=BB12_7 Depth=2
	s_or_b64 exec, exec, s[36:37]
	s_and_saveexec_b64 s[26:27], vcc
	s_cbranch_execz .LBB12_6
; %bb.10:                               ;   in Loop: Header=BB12_7 Depth=2
	v_lshlrev_b32_e32 v8, 2, v7
	ds_write_b32 v8, v5
	s_branch .LBB12_6
.LBB12_11:                              ;   in Loop: Header=BB12_4 Depth=1
	s_or_b64 exec, exec, s[28:29]
	v_lshrrev_b32_e32 v6, s38, v25
	v_bfe_u32 v7, v25, s38, 3
	v_lshrrev_b32_e32 v6, 2, v6
	v_mad_u32_u24 v7, v7, s33, v0
	v_and_b32_e32 v6, 2, v6
	v_lshl_or_b32 v27, v7, 2, v6
	ds_read_u16 v26, v27
	v_lshrrev_b32_e32 v6, s38, v24
	v_bfe_u32 v7, v24, s38, 3
	v_lshrrev_b32_e32 v6, 2, v6
	v_mad_u32_u24 v7, v7, s33, v0
	s_waitcnt lgkmcnt(0)
	v_add_u16_e32 v8, 1, v26
	v_and_b32_e32 v6, 2, v6
	ds_write_b16 v27, v8
	v_lshl_or_b32 v29, v7, 2, v6
	ds_read_u16 v28, v29
	v_bfe_u32 v7, v23, s38, 3
	v_mad_u32_u24 v7, v7, s33, v0
	s_waitcnt lgkmcnt(0)
	v_add_u16_e32 v6, 1, v28
	ds_write_b16 v29, v6
	v_lshrrev_b32_e32 v6, s38, v23
	v_lshrrev_b32_e32 v6, 2, v6
	v_and_b32_e32 v6, 2, v6
	v_lshl_or_b32 v31, v7, 2, v6
	ds_read_u16 v30, v31
	v_bfe_u32 v7, v22, s38, 3
	v_mad_u32_u24 v7, v7, s33, v0
	s_waitcnt lgkmcnt(0)
	v_add_u16_e32 v6, 1, v30
	ds_write_b16 v31, v6
	v_lshrrev_b32_e32 v6, s38, v22
	v_lshrrev_b32_e32 v6, 2, v6
	v_and_b32_e32 v6, 2, v6
	;; [unrolled: 10-line block ×3, first 2 shown]
	v_lshl_or_b32 v35, v7, 2, v6
	ds_read_u16 v34, v35
	s_waitcnt lgkmcnt(0)
	v_add_u16_e32 v6, 1, v34
	ds_write_b16 v35, v6
	s_waitcnt lgkmcnt(0)
	s_barrier
	ds_read2_b32 v[12:13], v16 offset1:1
	ds_read2_b32 v[10:11], v16 offset0:2 offset1:3
	ds_read2_b32 v[8:9], v16 offset0:4 offset1:5
	ds_read2_b32 v[6:7], v16 offset0:6 offset1:7
	s_waitcnt lgkmcnt(3)
	v_add_u32_e32 v36, v13, v12
	s_waitcnt lgkmcnt(2)
	v_add3_u32 v36, v36, v10, v11
	s_waitcnt lgkmcnt(1)
	v_add3_u32 v36, v36, v8, v9
	;; [unrolled: 2-line block ×3, first 2 shown]
	s_nop 1
	v_mov_b32_dpp v36, v7 row_shr:1 row_mask:0xf bank_mask:0xf
	v_cndmask_b32_e64 v36, v36, 0, s[4:5]
	v_add_u32_e32 v7, v36, v7
	s_nop 1
	v_mov_b32_dpp v36, v7 row_shr:2 row_mask:0xf bank_mask:0xf
	v_cndmask_b32_e64 v36, 0, v36, s[6:7]
	v_add_u32_e32 v7, v7, v36
	;; [unrolled: 4-line block ×4, first 2 shown]
	s_nop 1
	v_mov_b32_dpp v36, v7 row_bcast:15 row_mask:0xf bank_mask:0xf
	v_cndmask_b32_e64 v36, v36, 0, s[12:13]
	v_add_u32_e32 v7, v7, v36
	s_nop 1
	v_mov_b32_dpp v36, v7 row_bcast:31 row_mask:0xf bank_mask:0xf
	v_cndmask_b32_e64 v36, 0, v36, s[14:15]
	v_add_u32_e32 v7, v7, v36
	s_and_saveexec_b64 s[26:27], s[18:19]
	s_cbranch_execz .LBB12_13
; %bb.12:                               ;   in Loop: Header=BB12_4 Depth=1
	ds_write_b32 v19, v7 offset:2080
.LBB12_13:                              ;   in Loop: Header=BB12_4 Depth=1
	s_or_b64 exec, exec, s[26:27]
	s_waitcnt lgkmcnt(0)
	s_barrier
	s_and_saveexec_b64 s[26:27], s[20:21]
	s_cbranch_execz .LBB12_15
; %bb.14:                               ;   in Loop: Header=BB12_4 Depth=1
	ds_read_b32 v36, v14 offset:2080
	s_waitcnt lgkmcnt(0)
	s_nop 0
	v_mov_b32_dpp v37, v36 row_shr:1 row_mask:0xf bank_mask:0xf
	v_cndmask_b32_e64 v37, v37, 0, s[24:25]
	v_add_u32_e32 v36, v37, v36
	ds_write_b32 v14, v36 offset:2080
.LBB12_15:                              ;   in Loop: Header=BB12_4 Depth=1
	s_or_b64 exec, exec, s[26:27]
	v_mov_b32_e32 v36, 0
	s_waitcnt lgkmcnt(0)
	s_barrier
	s_and_saveexec_b64 s[26:27], s[16:17]
	s_cbranch_execz .LBB12_17
; %bb.16:                               ;   in Loop: Header=BB12_4 Depth=1
	ds_read_b32 v36, v19 offset:2076
.LBB12_17:                              ;   in Loop: Header=BB12_4 Depth=1
	s_or_b64 exec, exec, s[26:27]
	s_waitcnt lgkmcnt(0)
	v_add_u32_e32 v7, v36, v7
	ds_bpermute_b32 v7, v18, v7
	ds_read_b32 v37, v5 offset:2084
	s_cmp_gt_u32 s38, 27
	s_waitcnt lgkmcnt(1)
	v_cndmask_b32_e64 v7, v7, v36, s[22:23]
	s_waitcnt lgkmcnt(0)
	v_lshl_add_u32 v7, v37, 16, v7
	v_add_u32_e32 v12, v7, v12
	v_add_u32_e32 v13, v12, v13
	ds_write2_b32 v16, v7, v12 offset1:1
	v_add_u32_e32 v7, v13, v10
	v_add_u32_e32 v10, v7, v11
	ds_write2_b32 v16, v13, v7 offset0:2 offset1:3
	v_add_u32_e32 v7, v10, v8
	v_add_u32_e32 v8, v7, v9
	;; [unrolled: 1-line block ×3, first 2 shown]
	ds_write2_b32 v16, v10, v7 offset0:4 offset1:5
	ds_write2_b32 v16, v8, v6 offset0:6 offset1:7
	s_waitcnt lgkmcnt(0)
	s_barrier
	ds_read_u16 v6, v27
	ds_read_u16 v7, v29
	;; [unrolled: 1-line block ×5, first 2 shown]
	s_waitcnt lgkmcnt(4)
	v_add_u32_sdwa v27, v6, v26 dst_sel:DWORD dst_unused:UNUSED_PAD src0_sel:DWORD src1_sel:WORD_0
	s_waitcnt lgkmcnt(3)
	v_add_u32_sdwa v26, v7, v28 dst_sel:DWORD dst_unused:UNUSED_PAD src0_sel:DWORD src1_sel:WORD_0
	;; [unrolled: 2-line block ×5, first 2 shown]
	s_cbranch_scc0 .LBB12_3
; %bb.18:
                                        ; implicit-def: $vgpr10
                                        ; implicit-def: $vgpr9
                                        ; implicit-def: $vgpr7
                                        ; implicit-def: $sgpr38
.LBB12_19:
	v_lshlrev_b32_e32 v1, 2, v27
	s_barrier
	ds_write_b32 v1, v25
	v_lshlrev_b32_e32 v1, 2, v26
	ds_write_b32 v1, v24
	v_lshlrev_b32_e32 v1, 2, v12
	;; [unrolled: 2-line block ×4, first 2 shown]
	ds_write_b32 v1, v21
	s_waitcnt lgkmcnt(0)
	s_barrier
	ds_read2_b32 v[4:5], v17 offset1:1
	ds_read2_b32 v[6:7], v17 offset0:2 offset1:3
	ds_read_b32 v1, v17 offset:16
	s_waitcnt lgkmcnt(0)
	s_barrier
	s_and_saveexec_b64 s[2:3], s[0:1]
	s_cbranch_execz .LBB12_21
; %bb.20:
	v_mov_b32_e32 v3, 0x145
	ds_write2_b32 v14, v3, v3 offset0:130 offset1:195
.LBB12_21:
	s_or_b64 exec, exec, s[2:3]
	v_cmp_ne_u32_e32 vcc, v7, v1
	v_lshlrev_b32_e32 v3, 2, v7
	s_waitcnt lgkmcnt(0)
	s_barrier
	ds_write_b32 v14, v1
	s_and_saveexec_b64 s[2:3], vcc
	s_cbranch_execz .LBB12_23
; %bb.22:
	v_add_u32_e32 v8, 4, v15
	v_lshlrev_b32_e32 v1, 2, v1
	ds_write_b32 v1, v8 offset:520
	ds_write_b32 v3, v8 offset:780
.LBB12_23:
	s_or_b64 exec, exec, s[2:3]
	v_cmp_ne_u32_e32 vcc, v6, v7
	v_lshlrev_b32_e32 v1, 2, v6
	s_and_saveexec_b64 s[2:3], vcc
	s_cbranch_execz .LBB12_25
; %bb.24:
	v_add_u32_e32 v7, 3, v15
	ds_write_b32 v3, v7 offset:520
	ds_write_b32 v1, v7 offset:780
.LBB12_25:
	s_or_b64 exec, exec, s[2:3]
	v_cmp_ne_u32_e32 vcc, v5, v6
	v_lshlrev_b32_e32 v3, 2, v5
	s_and_saveexec_b64 s[2:3], vcc
	s_cbranch_execz .LBB12_27
; %bb.26:
	v_add_u32_e32 v6, 2, v15
	ds_write_b32 v1, v6 offset:520
	ds_write_b32 v3, v6 offset:780
.LBB12_27:
	s_or_b64 exec, exec, s[2:3]
	v_cmp_ne_u32_e32 vcc, v4, v5
	v_lshlrev_b32_e32 v1, 2, v4
	s_and_saveexec_b64 s[2:3], vcc
	s_cbranch_execz .LBB12_29
; %bb.28:
	v_add_u32_e32 v5, 1, v15
	ds_write_b32 v3, v5 offset:520
	ds_write_b32 v1, v5 offset:780
.LBB12_29:
	s_or_b64 exec, exec, s[2:3]
	v_cmp_eq_u32_e32 vcc, 0, v0
	v_cmp_ne_u32_e64 s[2:3], 0, v0
	s_waitcnt lgkmcnt(0)
	s_barrier
	s_and_saveexec_b64 s[4:5], s[2:3]
	s_cbranch_execz .LBB12_32
; %bb.30:
	v_add_u32_e32 v0, -4, v14
	ds_read_b32 v3, v0
	s_waitcnt lgkmcnt(0)
	v_cmp_ne_u32_e64 s[2:3], v3, v4
	s_and_b64 exec, exec, s[2:3]
	s_cbranch_execz .LBB12_32
; %bb.31:
	ds_write_b32 v1, v15 offset:520
	ds_read_b32 v0, v0
	s_waitcnt lgkmcnt(0)
	v_lshlrev_b32_e32 v0, 2, v0
	ds_write_b32 v0, v15 offset:780
.LBB12_32:
	s_or_b64 exec, exec, s[4:5]
	s_waitcnt lgkmcnt(0)
	s_barrier
	s_and_saveexec_b64 s[2:3], vcc
	s_cbranch_execz .LBB12_34
; %bb.33:
	v_mov_b32_e32 v0, 0
	ds_write_b32 v1, v0 offset:520
.LBB12_34:
	s_or_b64 exec, exec, s[2:3]
	s_waitcnt lgkmcnt(0)
	s_barrier
	s_and_saveexec_b64 s[2:3], s[0:1]
	s_cbranch_execz .LBB12_36
; %bb.35:
	ds_read2_b32 v[0:1], v14 offset0:130 offset1:195
	ds_read_b32 v3, v14 offset:2096
	s_waitcnt lgkmcnt(1)
	v_sub_u32_e32 v0, v1, v0
	s_waitcnt lgkmcnt(0)
	v_add_u32_e32 v0, v0, v3
	ds_write_b32 v14, v0 offset:2096
.LBB12_36:
	s_or_b64 exec, exec, s[2:3]
	s_waitcnt lgkmcnt(0)
	s_barrier
	s_and_saveexec_b64 s[2:3], s[0:1]
	s_cbranch_execz .LBB12_38
; %bb.37:
	v_mov_b32_e32 v3, 0
	v_lshlrev_b64 v[0:1], 2, v[2:3]
	ds_read_b32 v3, v14 offset:2096
	v_mov_b32_e32 v2, s31
	v_add_co_u32_e32 v0, vcc, s30, v0
	v_addc_co_u32_e32 v1, vcc, v2, v1, vcc
	s_waitcnt lgkmcnt(0)
	global_store_dword v[0:1], v3, off
.LBB12_38:
	s_endpgm
	.section	.rodata,"a",@progbits
	.p2align	6, 0x0
	.amdhsa_kernel _Z16histogram_kernelILj65ELj5ELj65ELN6hipcub23BlockHistogramAlgorithmE1EjEvPT3_S3_
		.amdhsa_group_segment_fixed_size 2356
		.amdhsa_private_segment_fixed_size 0
		.amdhsa_kernarg_size 16
		.amdhsa_user_sgpr_count 6
		.amdhsa_user_sgpr_private_segment_buffer 1
		.amdhsa_user_sgpr_dispatch_ptr 0
		.amdhsa_user_sgpr_queue_ptr 0
		.amdhsa_user_sgpr_kernarg_segment_ptr 1
		.amdhsa_user_sgpr_dispatch_id 0
		.amdhsa_user_sgpr_flat_scratch_init 0
		.amdhsa_user_sgpr_kernarg_preload_length 0
		.amdhsa_user_sgpr_kernarg_preload_offset 0
		.amdhsa_user_sgpr_private_segment_size 0
		.amdhsa_uses_dynamic_stack 0
		.amdhsa_system_sgpr_private_segment_wavefront_offset 0
		.amdhsa_system_sgpr_workgroup_id_x 1
		.amdhsa_system_sgpr_workgroup_id_y 0
		.amdhsa_system_sgpr_workgroup_id_z 0
		.amdhsa_system_sgpr_workgroup_info 0
		.amdhsa_system_vgpr_workitem_id 0
		.amdhsa_next_free_vgpr 38
		.amdhsa_next_free_sgpr 40
		.amdhsa_accum_offset 40
		.amdhsa_reserve_vcc 1
		.amdhsa_reserve_flat_scratch 0
		.amdhsa_float_round_mode_32 0
		.amdhsa_float_round_mode_16_64 0
		.amdhsa_float_denorm_mode_32 3
		.amdhsa_float_denorm_mode_16_64 3
		.amdhsa_dx10_clamp 1
		.amdhsa_ieee_mode 1
		.amdhsa_fp16_overflow 0
		.amdhsa_tg_split 0
		.amdhsa_exception_fp_ieee_invalid_op 0
		.amdhsa_exception_fp_denorm_src 0
		.amdhsa_exception_fp_ieee_div_zero 0
		.amdhsa_exception_fp_ieee_overflow 0
		.amdhsa_exception_fp_ieee_underflow 0
		.amdhsa_exception_fp_ieee_inexact 0
		.amdhsa_exception_int_div_zero 0
	.end_amdhsa_kernel
	.section	.text._Z16histogram_kernelILj65ELj5ELj65ELN6hipcub23BlockHistogramAlgorithmE1EjEvPT3_S3_,"axG",@progbits,_Z16histogram_kernelILj65ELj5ELj65ELN6hipcub23BlockHistogramAlgorithmE1EjEvPT3_S3_,comdat
.Lfunc_end12:
	.size	_Z16histogram_kernelILj65ELj5ELj65ELN6hipcub23BlockHistogramAlgorithmE1EjEvPT3_S3_, .Lfunc_end12-_Z16histogram_kernelILj65ELj5ELj65ELN6hipcub23BlockHistogramAlgorithmE1EjEvPT3_S3_
                                        ; -- End function
	.section	.AMDGPU.csdata,"",@progbits
; Kernel info:
; codeLenInByte = 2188
; NumSgprs: 44
; NumVgprs: 38
; NumAgprs: 0
; TotalNumVgprs: 38
; ScratchSize: 0
; MemoryBound: 0
; FloatMode: 240
; IeeeMode: 1
; LDSByteSize: 2356 bytes/workgroup (compile time only)
; SGPRBlocks: 5
; VGPRBlocks: 4
; NumSGPRsForWavesPerEU: 44
; NumVGPRsForWavesPerEU: 38
; AccumOffset: 40
; Occupancy: 8
; WaveLimiterHint : 0
; COMPUTE_PGM_RSRC2:SCRATCH_EN: 0
; COMPUTE_PGM_RSRC2:USER_SGPR: 6
; COMPUTE_PGM_RSRC2:TRAP_HANDLER: 0
; COMPUTE_PGM_RSRC2:TGID_X_EN: 1
; COMPUTE_PGM_RSRC2:TGID_Y_EN: 0
; COMPUTE_PGM_RSRC2:TGID_Z_EN: 0
; COMPUTE_PGM_RSRC2:TIDIG_COMP_CNT: 0
; COMPUTE_PGM_RSRC3_GFX90A:ACCUM_OFFSET: 9
; COMPUTE_PGM_RSRC3_GFX90A:TG_SPLIT: 0
	.section	.text._Z16histogram_kernelILj37ELj2ELj37ELN6hipcub23BlockHistogramAlgorithmE1EjEvPT3_S3_,"axG",@progbits,_Z16histogram_kernelILj37ELj2ELj37ELN6hipcub23BlockHistogramAlgorithmE1EjEvPT3_S3_,comdat
	.protected	_Z16histogram_kernelILj37ELj2ELj37ELN6hipcub23BlockHistogramAlgorithmE1EjEvPT3_S3_ ; -- Begin function _Z16histogram_kernelILj37ELj2ELj37ELN6hipcub23BlockHistogramAlgorithmE1EjEvPT3_S3_
	.globl	_Z16histogram_kernelILj37ELj2ELj37ELN6hipcub23BlockHistogramAlgorithmE1EjEvPT3_S3_
	.p2align	8
	.type	_Z16histogram_kernelILj37ELj2ELj37ELN6hipcub23BlockHistogramAlgorithmE1EjEvPT3_S3_,@function
_Z16histogram_kernelILj37ELj2ELj37ELN6hipcub23BlockHistogramAlgorithmE1EjEvPT3_S3_: ; @_Z16histogram_kernelILj37ELj2ELj37ELN6hipcub23BlockHistogramAlgorithmE1EjEvPT3_S3_
; %bb.0:
	s_load_dwordx4 s[20:23], s[4:5], 0x0
	v_mad_u64_u32 v[2:3], s[0:1], s6, 37, v[0:1]
	v_lshlrev_b32_e32 v4, 1, v2
	v_mov_b32_e32 v5, 0
	v_lshlrev_b64 v[6:7], 2, v[4:5]
	s_waitcnt lgkmcnt(0)
	v_mov_b32_e32 v1, s21
	v_add_co_u32_e32 v6, vcc, s20, v6
	v_addc_co_u32_e32 v7, vcc, v1, v7, vcc
	global_load_dwordx2 v[8:9], v[6:7], off
	v_cmp_gt_u32_e64 s[0:1], 37, v0
	v_lshlrev_b32_e32 v16, 2, v0
	s_and_saveexec_b64 s[2:3], s[0:1]
	s_cbranch_execz .LBB13_2
; %bb.1:
	ds_write_b32 v16, v5 offset:1200
.LBB13_2:
	s_or_b64 exec, exec, s[2:3]
	v_mbcnt_lo_u32_b32 v1, -1, 0
	v_mbcnt_hi_u32_b32 v1, -1, v1
	v_and_b32_e32 v3, 15, v1
	v_cmp_eq_u32_e64 s[4:5], 0, v3
	v_cmp_lt_u32_e64 s[6:7], 1, v3
	v_cmp_lt_u32_e64 s[8:9], 3, v3
	;; [unrolled: 1-line block ×3, first 2 shown]
	v_and_b32_e32 v3, 16, v1
	v_cmp_eq_u32_e64 s[12:13], 0, v3
	v_add_u32_e32 v3, -1, v1
	v_and_b32_e32 v4, 64, v1
	v_cmp_lt_i32_e32 vcc, v3, v4
	v_cndmask_b32_e32 v3, v3, v1, vcc
	s_movk_i32 s20, 0x103
	v_lshlrev_b32_e32 v20, 2, v3
	v_bfrev_b32_e32 v3, -4.0
	v_cmp_gt_u32_e32 vcc, s20, v0
	v_subb_co_u32_e64 v3, s[20:21], v3, v0, vcc
	s_mov_b32 s20, 0xbacf914d
	v_cmp_lt_u32_e64 s[14:15], 31, v1
	v_cmp_eq_u32_e64 s[18:19], 0, v1
	v_sub_u32_e32 v1, 0x103, v0
	v_mul_hi_u32 v3, v3, s20
	v_subb_co_u32_e64 v1, s[20:21], v1, v3, vcc
	v_lshrrev_b32_e32 v1, 1, v1
	v_add_u32_e32 v1, v1, v3
	v_lshrrev_b32_e32 v1, 5, v1
	s_movk_i32 s2, 0x128
	v_addc_co_u32_e64 v4, s[20:21], 0, v1, vcc
	v_addc_co_u32_e32 v1, vcc, 2, v1, vcc
	v_cmp_gt_u32_e64 s[2:3], s2, v0
	v_lshlrev_b32_e32 v18, 3, v0
	v_lshlrev_b32_e32 v19, 5, v0
	s_mov_b32 s30, 0
	v_cmp_eq_u32_e64 s[16:17], 36, v0
	v_lshlrev_b32_e32 v17, 1, v0
	v_and_b32_e32 v21, 0xffffffe, v1
	v_add_u32_e32 v1, 37, v0
	v_mov_b32_e32 v3, v4
	s_waitcnt lgkmcnt(0)
	; wave barrier
	s_waitcnt lgkmcnt(0)
	s_branch .LBB13_4
.LBB13_3:                               ;   in Loop: Header=BB13_4 Depth=1
	v_lshlrev_b32_e32 v8, 2, v10
	s_waitcnt lgkmcnt(0)
	; wave barrier
	ds_write_b32 v8, v6
	v_lshlrev_b32_e32 v8, 2, v11
	ds_write_b32 v8, v7
	s_waitcnt lgkmcnt(0)
	; wave barrier
	s_waitcnt lgkmcnt(0)
	ds_read2_b32 v[8:9], v18 offset1:1
	s_add_i32 s30, s30, 4
	s_waitcnt lgkmcnt(0)
	; wave barrier
	s_waitcnt lgkmcnt(0)
	s_cbranch_execz .LBB13_15
.LBB13_4:                               ; =>This Loop Header: Depth=1
                                        ;     Child Loop BB13_7 Depth 2
	s_waitcnt vmcnt(0)
	v_pk_mov_b32 v[6:7], v[8:9], v[8:9] op_sel:[0,1]
	s_and_saveexec_b64 s[24:25], s[2:3]
	s_cbranch_execz .LBB13_11
; %bb.5:                                ;   in Loop: Header=BB13_4 Depth=1
	s_mov_b32 s31, 0
	s_mov_b64 s[26:27], 0
	v_pk_mov_b32 v[8:9], v[0:1], v[0:1] op_sel:[0,1]
	s_branch .LBB13_7
.LBB13_6:                               ;   in Loop: Header=BB13_7 Depth=2
	s_or_b64 exec, exec, s[20:21]
	s_add_i32 s31, s31, 2
	v_cmp_eq_u32_e32 vcc, s31, v21
	v_add_u32_e32 v9, 0x4a, v9
	s_or_b64 s[26:27], vcc, s[26:27]
	v_add_u32_e32 v8, 0x4a, v8
	s_andn2_b64 exec, exec, s[26:27]
	s_cbranch_execz .LBB13_11
.LBB13_7:                               ;   Parent Loop BB13_4 Depth=1
                                        ; =>  This Inner Loop Header: Depth=2
	s_or_b32 s20, s31, 1
	v_cmp_le_u32_e32 vcc, s20, v3
	v_cmp_le_u32_e64 s[20:21], s31, v4
	s_and_saveexec_b64 s[28:29], s[20:21]
	s_cbranch_execz .LBB13_9
; %bb.8:                                ;   in Loop: Header=BB13_7 Depth=2
	v_lshlrev_b32_e32 v10, 2, v8
	ds_write_b32 v10, v5
.LBB13_9:                               ;   in Loop: Header=BB13_7 Depth=2
	s_or_b64 exec, exec, s[28:29]
	s_and_saveexec_b64 s[20:21], vcc
	s_cbranch_execz .LBB13_6
; %bb.10:                               ;   in Loop: Header=BB13_7 Depth=2
	v_lshlrev_b32_e32 v10, 2, v9
	ds_write_b32 v10, v5
	s_branch .LBB13_6
.LBB13_11:                              ;   in Loop: Header=BB13_4 Depth=1
	s_or_b64 exec, exec, s[24:25]
	v_lshrrev_b32_e32 v8, s30, v6
	v_bfe_u32 v9, v6, s30, 3
	v_lshrrev_b32_e32 v8, 2, v8
	v_mad_u32_u24 v9, v9, 37, v0
	v_and_b32_e32 v8, 2, v8
	v_lshl_or_b32 v23, v9, 2, v8
	ds_read_u16 v22, v23
	v_lshrrev_b32_e32 v8, s30, v7
	v_bfe_u32 v9, v7, s30, 3
	v_lshrrev_b32_e32 v8, 2, v8
	v_mad_u32_u24 v9, v9, 37, v0
	s_waitcnt lgkmcnt(0)
	v_add_u16_e32 v10, 1, v22
	v_and_b32_e32 v8, 2, v8
	ds_write_b16 v23, v10
	v_lshl_or_b32 v25, v9, 2, v8
	ds_read_u16 v24, v25
	s_waitcnt lgkmcnt(0)
	v_add_u16_e32 v8, 1, v24
	ds_write_b16 v25, v8
	s_waitcnt lgkmcnt(0)
	; wave barrier
	s_waitcnt lgkmcnt(0)
	ds_read2_b32 v[14:15], v19 offset1:1
	ds_read2_b32 v[12:13], v19 offset0:2 offset1:3
	ds_read2_b32 v[8:9], v19 offset0:4 offset1:5
	;; [unrolled: 1-line block ×3, first 2 shown]
	s_waitcnt lgkmcnt(3)
	v_add_u32_e32 v26, v15, v14
	s_waitcnt lgkmcnt(2)
	v_add3_u32 v26, v26, v12, v13
	s_waitcnt lgkmcnt(1)
	v_add3_u32 v26, v26, v8, v9
	;; [unrolled: 2-line block ×3, first 2 shown]
	s_nop 1
	v_mov_b32_dpp v26, v11 row_shr:1 row_mask:0xf bank_mask:0xf
	v_cndmask_b32_e64 v26, v26, 0, s[4:5]
	v_add_u32_e32 v11, v26, v11
	s_nop 1
	v_mov_b32_dpp v26, v11 row_shr:2 row_mask:0xf bank_mask:0xf
	v_cndmask_b32_e64 v26, 0, v26, s[6:7]
	v_add_u32_e32 v11, v11, v26
	;; [unrolled: 4-line block ×4, first 2 shown]
	s_nop 1
	v_mov_b32_dpp v26, v11 row_bcast:15 row_mask:0xf bank_mask:0xf
	v_cndmask_b32_e64 v26, v26, 0, s[12:13]
	v_add_u32_e32 v11, v11, v26
	s_nop 1
	v_mov_b32_dpp v26, v11 row_bcast:31 row_mask:0xf bank_mask:0xf
	v_cndmask_b32_e64 v26, 0, v26, s[14:15]
	v_add_u32_e32 v11, v11, v26
	s_and_saveexec_b64 s[20:21], s[16:17]
	s_cbranch_execz .LBB13_13
; %bb.12:                               ;   in Loop: Header=BB13_4 Depth=1
	ds_write_b32 v5, v11 offset:1184
.LBB13_13:                              ;   in Loop: Header=BB13_4 Depth=1
	s_or_b64 exec, exec, s[20:21]
	ds_bpermute_b32 v11, v20, v11
	s_waitcnt lgkmcnt(0)
	; wave barrier
	s_waitcnt lgkmcnt(0)
	ds_read_b32 v26, v5 offset:1184
	s_cmp_gt_u32 s30, 27
	v_cndmask_b32_e64 v11, v11, 0, s[18:19]
	s_waitcnt lgkmcnt(0)
	v_lshl_add_u32 v11, v26, 16, v11
	v_add_u32_e32 v14, v11, v14
	v_add_u32_e32 v15, v14, v15
	ds_write2_b32 v19, v11, v14 offset1:1
	v_add_u32_e32 v11, v15, v12
	v_add_u32_e32 v12, v11, v13
	;; [unrolled: 1-line block ×5, first 2 shown]
	ds_write2_b32 v19, v15, v11 offset0:2 offset1:3
	ds_write2_b32 v19, v12, v8 offset0:4 offset1:5
	;; [unrolled: 1-line block ×3, first 2 shown]
	s_waitcnt lgkmcnt(0)
	; wave barrier
	s_waitcnt lgkmcnt(0)
	ds_read_u16 v8, v23
	ds_read_u16 v9, v25
	s_waitcnt lgkmcnt(1)
	v_add_u32_sdwa v10, v8, v22 dst_sel:DWORD dst_unused:UNUSED_PAD src0_sel:DWORD src1_sel:WORD_0
	s_waitcnt lgkmcnt(0)
	v_add_u32_sdwa v11, v9, v24 dst_sel:DWORD dst_unused:UNUSED_PAD src0_sel:DWORD src1_sel:WORD_0
	s_cbranch_scc0 .LBB13_3
; %bb.14:
                                        ; implicit-def: $sgpr30
                                        ; implicit-def: $vgpr8_vgpr9
.LBB13_15:
	v_lshlrev_b32_e32 v1, 2, v10
	s_waitcnt lgkmcnt(0)
	; wave barrier
	ds_write_b32 v1, v6
	v_lshlrev_b32_e32 v1, 2, v11
	ds_write_b32 v1, v7
	s_waitcnt lgkmcnt(0)
	; wave barrier
	s_waitcnt lgkmcnt(0)
	ds_read2_b32 v[4:5], v18 offset1:1
	s_waitcnt lgkmcnt(0)
	; wave barrier
	s_waitcnt lgkmcnt(0)
	s_and_saveexec_b64 s[2:3], s[0:1]
	s_cbranch_execz .LBB13_17
; %bb.16:
	v_mov_b32_e32 v1, 0x4a
	ds_write2_b32 v16, v1, v1 offset0:74 offset1:111
.LBB13_17:
	s_or_b64 exec, exec, s[2:3]
	v_cmp_ne_u32_e32 vcc, v4, v5
	v_lshlrev_b32_e32 v1, 2, v4
	s_waitcnt lgkmcnt(0)
	; wave barrier
	s_waitcnt lgkmcnt(0)
	ds_write_b32 v16, v5
	s_and_saveexec_b64 s[2:3], vcc
	s_cbranch_execz .LBB13_19
; %bb.18:
	v_or_b32_e32 v3, 1, v17
	v_lshlrev_b32_e32 v5, 2, v5
	ds_write_b32 v5, v3 offset:296
	ds_write_b32 v1, v3 offset:444
.LBB13_19:
	s_or_b64 exec, exec, s[2:3]
	v_cmp_eq_u32_e32 vcc, 0, v0
	v_cmp_ne_u32_e64 s[2:3], 0, v0
	s_waitcnt lgkmcnt(0)
	; wave barrier
	s_waitcnt lgkmcnt(0)
	s_and_saveexec_b64 s[4:5], s[2:3]
	s_cbranch_execz .LBB13_22
; %bb.20:
	v_add_u32_e32 v0, -4, v16
	ds_read_b32 v3, v0
	s_waitcnt lgkmcnt(0)
	v_cmp_ne_u32_e64 s[2:3], v3, v4
	s_and_b64 exec, exec, s[2:3]
	s_cbranch_execz .LBB13_22
; %bb.21:
	ds_write_b32 v1, v17 offset:296
	ds_read_b32 v0, v0
	s_waitcnt lgkmcnt(0)
	v_lshlrev_b32_e32 v0, 2, v0
	ds_write_b32 v0, v17 offset:444
.LBB13_22:
	s_or_b64 exec, exec, s[4:5]
	s_waitcnt lgkmcnt(0)
	; wave barrier
	s_waitcnt lgkmcnt(0)
	s_and_saveexec_b64 s[2:3], vcc
	s_cbranch_execz .LBB13_24
; %bb.23:
	v_mov_b32_e32 v0, 0
	ds_write_b32 v1, v0 offset:296
.LBB13_24:
	s_or_b64 exec, exec, s[2:3]
	s_waitcnt lgkmcnt(0)
	; wave barrier
	s_waitcnt lgkmcnt(0)
	s_and_saveexec_b64 s[2:3], s[0:1]
	s_cbranch_execz .LBB13_26
; %bb.25:
	ds_read2_b32 v[0:1], v16 offset0:74 offset1:111
	ds_read_b32 v3, v16 offset:1200
	s_waitcnt lgkmcnt(1)
	v_sub_u32_e32 v0, v1, v0
	s_waitcnt lgkmcnt(0)
	v_add_u32_e32 v0, v0, v3
	ds_write_b32 v16, v0 offset:1200
.LBB13_26:
	s_or_b64 exec, exec, s[2:3]
	s_waitcnt lgkmcnt(0)
	; wave barrier
	s_waitcnt lgkmcnt(0)
	s_and_saveexec_b64 s[2:3], s[0:1]
	s_cbranch_execz .LBB13_28
; %bb.27:
	v_mov_b32_e32 v3, 0
	v_lshlrev_b64 v[0:1], 2, v[2:3]
	ds_read_b32 v3, v16 offset:1200
	v_mov_b32_e32 v2, s23
	v_add_co_u32_e32 v0, vcc, s22, v0
	v_addc_co_u32_e32 v1, vcc, v2, v1, vcc
	s_waitcnt lgkmcnt(0)
	global_store_dword v[0:1], v3, off
.LBB13_28:
	s_endpgm
	.section	.rodata,"a",@progbits
	.p2align	6, 0x0
	.amdhsa_kernel _Z16histogram_kernelILj37ELj2ELj37ELN6hipcub23BlockHistogramAlgorithmE1EjEvPT3_S3_
		.amdhsa_group_segment_fixed_size 1348
		.amdhsa_private_segment_fixed_size 0
		.amdhsa_kernarg_size 16
		.amdhsa_user_sgpr_count 6
		.amdhsa_user_sgpr_private_segment_buffer 1
		.amdhsa_user_sgpr_dispatch_ptr 0
		.amdhsa_user_sgpr_queue_ptr 0
		.amdhsa_user_sgpr_kernarg_segment_ptr 1
		.amdhsa_user_sgpr_dispatch_id 0
		.amdhsa_user_sgpr_flat_scratch_init 0
		.amdhsa_user_sgpr_kernarg_preload_length 0
		.amdhsa_user_sgpr_kernarg_preload_offset 0
		.amdhsa_user_sgpr_private_segment_size 0
		.amdhsa_uses_dynamic_stack 0
		.amdhsa_system_sgpr_private_segment_wavefront_offset 0
		.amdhsa_system_sgpr_workgroup_id_x 1
		.amdhsa_system_sgpr_workgroup_id_y 0
		.amdhsa_system_sgpr_workgroup_id_z 0
		.amdhsa_system_sgpr_workgroup_info 0
		.amdhsa_system_vgpr_workitem_id 0
		.amdhsa_next_free_vgpr 27
		.amdhsa_next_free_sgpr 32
		.amdhsa_accum_offset 28
		.amdhsa_reserve_vcc 1
		.amdhsa_reserve_flat_scratch 0
		.amdhsa_float_round_mode_32 0
		.amdhsa_float_round_mode_16_64 0
		.amdhsa_float_denorm_mode_32 3
		.amdhsa_float_denorm_mode_16_64 3
		.amdhsa_dx10_clamp 1
		.amdhsa_ieee_mode 1
		.amdhsa_fp16_overflow 0
		.amdhsa_tg_split 0
		.amdhsa_exception_fp_ieee_invalid_op 0
		.amdhsa_exception_fp_denorm_src 0
		.amdhsa_exception_fp_ieee_div_zero 0
		.amdhsa_exception_fp_ieee_overflow 0
		.amdhsa_exception_fp_ieee_underflow 0
		.amdhsa_exception_fp_ieee_inexact 0
		.amdhsa_exception_int_div_zero 0
	.end_amdhsa_kernel
	.section	.text._Z16histogram_kernelILj37ELj2ELj37ELN6hipcub23BlockHistogramAlgorithmE1EjEvPT3_S3_,"axG",@progbits,_Z16histogram_kernelILj37ELj2ELj37ELN6hipcub23BlockHistogramAlgorithmE1EjEvPT3_S3_,comdat
.Lfunc_end13:
	.size	_Z16histogram_kernelILj37ELj2ELj37ELN6hipcub23BlockHistogramAlgorithmE1EjEvPT3_S3_, .Lfunc_end13-_Z16histogram_kernelILj37ELj2ELj37ELN6hipcub23BlockHistogramAlgorithmE1EjEvPT3_S3_
                                        ; -- End function
	.section	.AMDGPU.csdata,"",@progbits
; Kernel info:
; codeLenInByte = 1456
; NumSgprs: 36
; NumVgprs: 27
; NumAgprs: 0
; TotalNumVgprs: 27
; ScratchSize: 0
; MemoryBound: 0
; FloatMode: 240
; IeeeMode: 1
; LDSByteSize: 1348 bytes/workgroup (compile time only)
; SGPRBlocks: 4
; VGPRBlocks: 3
; NumSGPRsForWavesPerEU: 36
; NumVGPRsForWavesPerEU: 27
; AccumOffset: 28
; Occupancy: 8
; WaveLimiterHint : 0
; COMPUTE_PGM_RSRC2:SCRATCH_EN: 0
; COMPUTE_PGM_RSRC2:USER_SGPR: 6
; COMPUTE_PGM_RSRC2:TRAP_HANDLER: 0
; COMPUTE_PGM_RSRC2:TGID_X_EN: 1
; COMPUTE_PGM_RSRC2:TGID_Y_EN: 0
; COMPUTE_PGM_RSRC2:TGID_Z_EN: 0
; COMPUTE_PGM_RSRC2:TIDIG_COMP_CNT: 0
; COMPUTE_PGM_RSRC3_GFX90A:ACCUM_OFFSET: 6
; COMPUTE_PGM_RSRC3_GFX90A:TG_SPLIT: 0
	.section	.text._Z16histogram_kernelILj1024ELj1ELj1024ELN6hipcub23BlockHistogramAlgorithmE1EjEvPT3_S3_,"axG",@progbits,_Z16histogram_kernelILj1024ELj1ELj1024ELN6hipcub23BlockHistogramAlgorithmE1EjEvPT3_S3_,comdat
	.protected	_Z16histogram_kernelILj1024ELj1ELj1024ELN6hipcub23BlockHistogramAlgorithmE1EjEvPT3_S3_ ; -- Begin function _Z16histogram_kernelILj1024ELj1ELj1024ELN6hipcub23BlockHistogramAlgorithmE1EjEvPT3_S3_
	.globl	_Z16histogram_kernelILj1024ELj1ELj1024ELN6hipcub23BlockHistogramAlgorithmE1EjEvPT3_S3_
	.p2align	8
	.type	_Z16histogram_kernelILj1024ELj1ELj1024ELN6hipcub23BlockHistogramAlgorithmE1EjEvPT3_S3_,@function
_Z16histogram_kernelILj1024ELj1ELj1024ELN6hipcub23BlockHistogramAlgorithmE1EjEvPT3_S3_: ; @_Z16histogram_kernelILj1024ELj1ELj1024ELN6hipcub23BlockHistogramAlgorithmE1EjEvPT3_S3_
; %bb.0:
	s_load_dwordx4 s[24:27], s[4:5], 0x0
	s_load_dword s0, s[4:5], 0x1c
	v_and_b32_e32 v4, 0x3ff, v0
	v_mov_b32_e32 v6, 0
	v_lshl_or_b32 v2, s6, 10, v4
	v_mov_b32_e32 v3, v6
	v_lshlrev_b64 v[2:3], 2, v[2:3]
	s_waitcnt lgkmcnt(0)
	v_mov_b32_e32 v1, s25
	v_add_co_u32_e32 v8, vcc, s24, v2
	v_addc_co_u32_e32 v9, vcc, v1, v3, vcc
	global_load_dword v1, v[8:9], off
	v_lshlrev_b32_e32 v10, 2, v4
	s_lshr_b32 s1, s0, 16
	v_bfe_u32 v7, v0, 10, 10
	v_bfe_u32 v0, v0, 20, 10
	v_add_u32_e32 v5, 0x4040, v10
	s_and_b32 s0, s0, 0xffff
	v_mad_u32_u24 v0, v0, s1, v7
	v_mad_u64_u32 v[8:9], s[0:1], v0, s0, v[4:5]
	v_mbcnt_lo_u32_b32 v0, -1, 0
	v_mbcnt_hi_u32_b32 v0, -1, v0
	v_and_b32_e32 v7, 15, v0
	v_cmp_eq_u32_e64 s[4:5], 0, v7
	v_cmp_lt_u32_e64 s[6:7], 1, v7
	v_cmp_lt_u32_e64 s[8:9], 3, v7
	;; [unrolled: 1-line block ×3, first 2 shown]
	v_and_b32_e32 v7, 16, v0
	v_cmp_eq_u32_e64 s[12:13], 0, v7
	v_and_b32_e32 v7, 63, v4
	v_lshrrev_b32_e32 v13, 6, v8
	v_cmp_eq_u32_e64 s[16:17], 63, v7
	v_add_u32_e32 v7, -1, v0
	v_and_b32_e32 v8, 64, v0
	v_cmp_lt_i32_e32 vcc, v7, v8
	v_cndmask_b32_e32 v7, v7, v0, vcc
	v_lshlrev_b32_e32 v14, 2, v7
	v_lshrrev_b32_e32 v7, 4, v4
	v_lshlrev_b32_e32 v11, 4, v4
	v_and_b32_e32 v15, 60, v7
	v_and_b32_e32 v7, 0x3c0, v4
	v_add_u32_e32 v12, 64, v11
	v_cmp_lt_u32_e64 s[14:15], 31, v0
	v_cmp_gt_u32_e64 s[18:19], 16, v4
	v_cmp_lt_u32_e64 s[20:21], 63, v4
	v_cmp_eq_u32_e64 s[22:23], 0, v0
	v_cmp_eq_u32_e64 s[0:1], 0, v4
	v_cmp_ne_u32_e64 s[2:3], 0, v4
	v_add_u32_e32 v16, -4, v15
	v_add_lshl_u32 v18, v0, v7, 2
	s_mov_b32 s28, 0
	ds_write_b32 v10, v6 offset:16448
	s_waitcnt lgkmcnt(0)
	s_barrier
	s_branch .LBB14_2
.LBB14_1:                               ;   in Loop: Header=BB14_2 Depth=1
	v_lshlrev_b32_e32 v1, 2, v0
	s_barrier
	ds_write_b32 v1, v17
	s_waitcnt lgkmcnt(0)
	s_barrier
	ds_read_b32 v1, v18
	s_add_i32 s28, s28, 8
	s_waitcnt lgkmcnt(0)
	s_barrier
	s_cbranch_execz .LBB14_12
.LBB14_2:                               ; =>This Inner Loop Header: Depth=1
	s_waitcnt vmcnt(0)
	v_mov_b32_e32 v17, v1
	v_bfe_u32 v1, v17, s28, 8
	v_lshl_add_u32 v1, v1, 4, v13
	v_lshl_add_u32 v19, v1, 2, 64
	v_bfe_u32 v1, v17, s28, 1
	v_add_co_u32_e32 v7, vcc, -1, v1
	v_addc_co_u32_e64 v8, s[24:25], 0, -1, vcc
	v_cmp_ne_u32_e32 vcc, 0, v1
	v_lshrrev_b32_e32 v0, s28, v17
	v_xor_b32_e32 v7, vcc_lo, v7
	v_xor_b32_e32 v1, vcc_hi, v8
	v_and_b32_e32 v8, exec_lo, v7
	v_lshlrev_b32_e32 v7, 30, v0
	v_cmp_gt_i64_e32 vcc, 0, v[6:7]
	v_not_b32_e32 v7, v7
	v_ashrrev_i32_e32 v7, 31, v7
	v_xor_b32_e32 v9, vcc_hi, v7
	v_xor_b32_e32 v7, vcc_lo, v7
	v_and_b32_e32 v8, v8, v7
	v_lshlrev_b32_e32 v7, 29, v0
	v_cmp_gt_i64_e32 vcc, 0, v[6:7]
	v_not_b32_e32 v7, v7
	v_and_b32_e32 v1, exec_hi, v1
	v_ashrrev_i32_e32 v7, 31, v7
	v_and_b32_e32 v1, v1, v9
	v_xor_b32_e32 v9, vcc_hi, v7
	v_xor_b32_e32 v7, vcc_lo, v7
	v_and_b32_e32 v8, v8, v7
	v_lshlrev_b32_e32 v7, 28, v0
	v_cmp_gt_i64_e32 vcc, 0, v[6:7]
	v_not_b32_e32 v7, v7
	v_ashrrev_i32_e32 v7, 31, v7
	v_and_b32_e32 v1, v1, v9
	v_xor_b32_e32 v9, vcc_hi, v7
	v_xor_b32_e32 v7, vcc_lo, v7
	v_and_b32_e32 v8, v8, v7
	v_lshlrev_b32_e32 v7, 27, v0
	v_cmp_gt_i64_e32 vcc, 0, v[6:7]
	v_not_b32_e32 v7, v7
	;; [unrolled: 8-line block ×4, first 2 shown]
	v_ashrrev_i32_e32 v7, 31, v7
	v_and_b32_e32 v1, v1, v9
	v_xor_b32_e32 v9, vcc_hi, v7
	v_xor_b32_e32 v7, vcc_lo, v7
	v_and_b32_e32 v8, v8, v7
	v_lshlrev_b32_e32 v7, 24, v0
	v_not_b32_e32 v0, v7
	v_cmp_gt_i64_e32 vcc, 0, v[6:7]
	v_ashrrev_i32_e32 v0, 31, v0
	v_xor_b32_e32 v7, vcc_hi, v0
	v_xor_b32_e32 v0, vcc_lo, v0
	v_and_b32_e32 v1, v1, v9
	v_and_b32_e32 v0, v8, v0
	;; [unrolled: 1-line block ×3, first 2 shown]
	v_mbcnt_lo_u32_b32 v7, v0, 0
	v_mbcnt_hi_u32_b32 v7, v1, v7
	v_cmp_eq_u32_e32 vcc, 0, v7
	v_cmp_ne_u64_e64 s[24:25], 0, v[0:1]
	s_and_b64 s[30:31], s[24:25], vcc
	ds_write2_b32 v11, v6, v6 offset0:16 offset1:17
	ds_write2_b32 v12, v6, v6 offset0:2 offset1:3
	s_waitcnt lgkmcnt(0)
	s_barrier
	s_waitcnt lgkmcnt(0)
	; wave barrier
	s_and_saveexec_b64 s[24:25], s[30:31]
	s_cbranch_execz .LBB14_4
; %bb.3:                                ;   in Loop: Header=BB14_2 Depth=1
	v_bcnt_u32_b32 v0, v0, 0
	v_bcnt_u32_b32 v0, v1, v0
	ds_write_b32 v19, v0
.LBB14_4:                               ;   in Loop: Header=BB14_2 Depth=1
	s_or_b64 exec, exec, s[24:25]
	; wave barrier
	s_waitcnt lgkmcnt(0)
	s_barrier
	ds_read2_b32 v[8:9], v11 offset0:16 offset1:17
	ds_read2_b32 v[0:1], v12 offset0:2 offset1:3
	s_waitcnt lgkmcnt(1)
	v_add_u32_e32 v20, v9, v8
	s_waitcnt lgkmcnt(0)
	v_add3_u32 v1, v20, v0, v1
	s_nop 1
	v_mov_b32_dpp v20, v1 row_shr:1 row_mask:0xf bank_mask:0xf
	v_cndmask_b32_e64 v20, v20, 0, s[4:5]
	v_add_u32_e32 v1, v20, v1
	s_nop 1
	v_mov_b32_dpp v20, v1 row_shr:2 row_mask:0xf bank_mask:0xf
	v_cndmask_b32_e64 v20, 0, v20, s[6:7]
	v_add_u32_e32 v1, v1, v20
	;; [unrolled: 4-line block ×4, first 2 shown]
	s_nop 1
	v_mov_b32_dpp v20, v1 row_bcast:15 row_mask:0xf bank_mask:0xf
	v_cndmask_b32_e64 v20, v20, 0, s[12:13]
	v_add_u32_e32 v1, v1, v20
	s_nop 1
	v_mov_b32_dpp v20, v1 row_bcast:31 row_mask:0xf bank_mask:0xf
	v_cndmask_b32_e64 v20, 0, v20, s[14:15]
	v_add_u32_e32 v1, v1, v20
	s_and_saveexec_b64 s[24:25], s[16:17]
	s_cbranch_execz .LBB14_6
; %bb.5:                                ;   in Loop: Header=BB14_2 Depth=1
	ds_write_b32 v15, v1
.LBB14_6:                               ;   in Loop: Header=BB14_2 Depth=1
	s_or_b64 exec, exec, s[24:25]
	s_waitcnt lgkmcnt(0)
	s_barrier
	s_and_saveexec_b64 s[24:25], s[18:19]
	s_cbranch_execz .LBB14_8
; %bb.7:                                ;   in Loop: Header=BB14_2 Depth=1
	ds_read_b32 v20, v10
	s_waitcnt lgkmcnt(0)
	s_nop 0
	v_mov_b32_dpp v21, v20 row_shr:1 row_mask:0xf bank_mask:0xf
	v_cndmask_b32_e64 v21, v21, 0, s[4:5]
	v_add_u32_e32 v20, v21, v20
	s_nop 1
	v_mov_b32_dpp v21, v20 row_shr:2 row_mask:0xf bank_mask:0xf
	v_cndmask_b32_e64 v21, 0, v21, s[6:7]
	v_add_u32_e32 v20, v20, v21
	;; [unrolled: 4-line block ×4, first 2 shown]
	ds_write_b32 v10, v20
.LBB14_8:                               ;   in Loop: Header=BB14_2 Depth=1
	s_or_b64 exec, exec, s[24:25]
	v_mov_b32_e32 v20, 0
	s_waitcnt lgkmcnt(0)
	s_barrier
	s_and_saveexec_b64 s[24:25], s[20:21]
	s_cbranch_execz .LBB14_10
; %bb.9:                                ;   in Loop: Header=BB14_2 Depth=1
	ds_read_b32 v20, v16
.LBB14_10:                              ;   in Loop: Header=BB14_2 Depth=1
	s_or_b64 exec, exec, s[24:25]
	s_waitcnt lgkmcnt(0)
	v_add_u32_e32 v1, v20, v1
	ds_bpermute_b32 v1, v14, v1
	s_cmp_gt_u32 s28, 23
	s_waitcnt lgkmcnt(0)
	v_cndmask_b32_e64 v1, v1, v20, s[22:23]
	v_cndmask_b32_e64 v1, v1, 0, s[0:1]
	v_add_u32_e32 v8, v1, v8
	v_add_u32_e32 v9, v8, v9
	;; [unrolled: 1-line block ×3, first 2 shown]
	ds_write2_b32 v11, v1, v8 offset0:16 offset1:17
	ds_write2_b32 v12, v9, v0 offset0:2 offset1:3
	s_waitcnt lgkmcnt(0)
	s_barrier
	ds_read_b32 v0, v19
	s_waitcnt lgkmcnt(0)
	v_add_u32_e32 v0, v0, v7
	s_cbranch_scc0 .LBB14_1
; %bb.11:
                                        ; implicit-def: $sgpr28
                                        ; implicit-def: $vgpr1
.LBB14_12:
	v_lshlrev_b32_e32 v0, 2, v0
	s_barrier
	ds_write_b32 v0, v17
	s_waitcnt lgkmcnt(0)
	s_barrier
	ds_read_b32 v0, v10
	v_mov_b32_e32 v1, 0x400
	s_waitcnt lgkmcnt(0)
	s_barrier
	ds_write2st64_b32 v10, v1, v1 offset0:32 offset1:48
	s_waitcnt lgkmcnt(0)
	s_barrier
	ds_write_b32 v10, v0
	s_waitcnt lgkmcnt(0)
	s_barrier
	s_and_saveexec_b64 s[4:5], s[2:3]
	s_cbranch_execz .LBB14_15
; %bb.13:
	v_add_u32_e32 v1, -4, v10
	ds_read_b32 v6, v1
	s_waitcnt lgkmcnt(0)
	v_cmp_ne_u32_e32 vcc, v6, v0
	s_and_b64 exec, exec, vcc
	s_cbranch_execz .LBB14_15
; %bb.14:
	v_lshlrev_b32_e32 v6, 2, v0
	ds_write_b32 v6, v4 offset:8192
	ds_read_b32 v1, v1
	s_waitcnt lgkmcnt(0)
	v_lshlrev_b32_e32 v1, 2, v1
	ds_write_b32 v1, v4 offset:12288
.LBB14_15:
	s_or_b64 exec, exec, s[4:5]
	s_waitcnt lgkmcnt(0)
	s_barrier
	s_and_saveexec_b64 s[2:3], s[0:1]
	s_cbranch_execz .LBB14_17
; %bb.16:
	v_lshlrev_b32_e32 v0, 2, v0
	v_mov_b32_e32 v1, 0
	ds_write_b32 v0, v1 offset:8192
.LBB14_17:
	s_or_b64 exec, exec, s[2:3]
	s_waitcnt lgkmcnt(0)
	s_barrier
	ds_read2st64_b32 v[0:1], v10 offset0:32 offset1:48
	ds_read_b32 v4, v5
	s_waitcnt lgkmcnt(1)
	v_sub_u32_e32 v0, v1, v0
	s_waitcnt lgkmcnt(0)
	v_add_u32_e32 v0, v0, v4
	ds_write_b32 v5, v0
	s_waitcnt lgkmcnt(0)
	s_barrier
	ds_read_b32 v4, v5
	v_mov_b32_e32 v1, s27
	v_add_co_u32_e32 v0, vcc, s26, v2
	v_addc_co_u32_e32 v1, vcc, v1, v3, vcc
	s_waitcnt lgkmcnt(0)
	global_store_dword v[0:1], v4, off
	s_endpgm
	.section	.rodata,"a",@progbits
	.p2align	6, 0x0
	.amdhsa_kernel _Z16histogram_kernelILj1024ELj1ELj1024ELN6hipcub23BlockHistogramAlgorithmE1EjEvPT3_S3_
		.amdhsa_group_segment_fixed_size 20544
		.amdhsa_private_segment_fixed_size 0
		.amdhsa_kernarg_size 272
		.amdhsa_user_sgpr_count 6
		.amdhsa_user_sgpr_private_segment_buffer 1
		.amdhsa_user_sgpr_dispatch_ptr 0
		.amdhsa_user_sgpr_queue_ptr 0
		.amdhsa_user_sgpr_kernarg_segment_ptr 1
		.amdhsa_user_sgpr_dispatch_id 0
		.amdhsa_user_sgpr_flat_scratch_init 0
		.amdhsa_user_sgpr_kernarg_preload_length 0
		.amdhsa_user_sgpr_kernarg_preload_offset 0
		.amdhsa_user_sgpr_private_segment_size 0
		.amdhsa_uses_dynamic_stack 0
		.amdhsa_system_sgpr_private_segment_wavefront_offset 0
		.amdhsa_system_sgpr_workgroup_id_x 1
		.amdhsa_system_sgpr_workgroup_id_y 0
		.amdhsa_system_sgpr_workgroup_id_z 0
		.amdhsa_system_sgpr_workgroup_info 0
		.amdhsa_system_vgpr_workitem_id 2
		.amdhsa_next_free_vgpr 22
		.amdhsa_next_free_sgpr 32
		.amdhsa_accum_offset 24
		.amdhsa_reserve_vcc 1
		.amdhsa_reserve_flat_scratch 0
		.amdhsa_float_round_mode_32 0
		.amdhsa_float_round_mode_16_64 0
		.amdhsa_float_denorm_mode_32 3
		.amdhsa_float_denorm_mode_16_64 3
		.amdhsa_dx10_clamp 1
		.amdhsa_ieee_mode 1
		.amdhsa_fp16_overflow 0
		.amdhsa_tg_split 0
		.amdhsa_exception_fp_ieee_invalid_op 0
		.amdhsa_exception_fp_denorm_src 0
		.amdhsa_exception_fp_ieee_div_zero 0
		.amdhsa_exception_fp_ieee_overflow 0
		.amdhsa_exception_fp_ieee_underflow 0
		.amdhsa_exception_fp_ieee_inexact 0
		.amdhsa_exception_int_div_zero 0
	.end_amdhsa_kernel
	.section	.text._Z16histogram_kernelILj1024ELj1ELj1024ELN6hipcub23BlockHistogramAlgorithmE1EjEvPT3_S3_,"axG",@progbits,_Z16histogram_kernelILj1024ELj1ELj1024ELN6hipcub23BlockHistogramAlgorithmE1EjEvPT3_S3_,comdat
.Lfunc_end14:
	.size	_Z16histogram_kernelILj1024ELj1ELj1024ELN6hipcub23BlockHistogramAlgorithmE1EjEvPT3_S3_, .Lfunc_end14-_Z16histogram_kernelILj1024ELj1ELj1024ELN6hipcub23BlockHistogramAlgorithmE1EjEvPT3_S3_
                                        ; -- End function
	.section	.AMDGPU.csdata,"",@progbits
; Kernel info:
; codeLenInByte = 1536
; NumSgprs: 36
; NumVgprs: 22
; NumAgprs: 0
; TotalNumVgprs: 22
; ScratchSize: 0
; MemoryBound: 0
; FloatMode: 240
; IeeeMode: 1
; LDSByteSize: 20544 bytes/workgroup (compile time only)
; SGPRBlocks: 4
; VGPRBlocks: 2
; NumSGPRsForWavesPerEU: 36
; NumVGPRsForWavesPerEU: 22
; AccumOffset: 24
; Occupancy: 8
; WaveLimiterHint : 0
; COMPUTE_PGM_RSRC2:SCRATCH_EN: 0
; COMPUTE_PGM_RSRC2:USER_SGPR: 6
; COMPUTE_PGM_RSRC2:TRAP_HANDLER: 0
; COMPUTE_PGM_RSRC2:TGID_X_EN: 1
; COMPUTE_PGM_RSRC2:TGID_Y_EN: 0
; COMPUTE_PGM_RSRC2:TGID_Z_EN: 0
; COMPUTE_PGM_RSRC2:TIDIG_COMP_CNT: 2
; COMPUTE_PGM_RSRC3_GFX90A:ACCUM_OFFSET: 5
; COMPUTE_PGM_RSRC3_GFX90A:TG_SPLIT: 0
	.section	.text._Z16histogram_kernelILj512ELj4ELj512ELN6hipcub23BlockHistogramAlgorithmE1EjEvPT3_S3_,"axG",@progbits,_Z16histogram_kernelILj512ELj4ELj512ELN6hipcub23BlockHistogramAlgorithmE1EjEvPT3_S3_,comdat
	.protected	_Z16histogram_kernelILj512ELj4ELj512ELN6hipcub23BlockHistogramAlgorithmE1EjEvPT3_S3_ ; -- Begin function _Z16histogram_kernelILj512ELj4ELj512ELN6hipcub23BlockHistogramAlgorithmE1EjEvPT3_S3_
	.globl	_Z16histogram_kernelILj512ELj4ELj512ELN6hipcub23BlockHistogramAlgorithmE1EjEvPT3_S3_
	.p2align	8
	.type	_Z16histogram_kernelILj512ELj4ELj512ELN6hipcub23BlockHistogramAlgorithmE1EjEvPT3_S3_,@function
_Z16histogram_kernelILj512ELj4ELj512ELN6hipcub23BlockHistogramAlgorithmE1EjEvPT3_S3_: ; @_Z16histogram_kernelILj512ELj4ELj512ELN6hipcub23BlockHistogramAlgorithmE1EjEvPT3_S3_
; %bb.0:
	s_load_dwordx4 s[36:39], s[4:5], 0x0
	v_and_b32_e32 v6, 0x3ff, v0
	v_lshlrev_b32_e32 v7, 2, v6
	v_mov_b32_e32 v8, 0
	v_lshl_or_b32 v2, s6, 11, v7
	v_mov_b32_e32 v3, v8
	v_lshlrev_b64 v[2:3], 2, v[2:3]
	s_waitcnt lgkmcnt(0)
	v_mov_b32_e32 v1, s37
	v_add_co_u32_e32 v2, vcc, s36, v2
	v_addc_co_u32_e32 v3, vcc, v1, v3, vcc
	global_load_dwordx4 v[2:5], v[2:3], off
	s_movk_i32 s0, 0x200
	v_cmp_gt_u32_e64 s[0:1], s0, v6
	s_and_saveexec_b64 s[2:3], s[0:1]
	s_cbranch_execz .LBB15_2
; %bb.1:
	ds_write_b32 v7, v8 offset:8224
.LBB15_2:
	s_or_b64 exec, exec, s[2:3]
	v_mbcnt_lo_u32_b32 v1, -1, 0
	v_mbcnt_hi_u32_b32 v9, -1, v1
	v_lshrrev_b32_e32 v1, 2, v9
	v_and_b32_e32 v13, 64, v9
	v_or_b32_e32 v10, v1, v13
	v_lshlrev_b32_e32 v12, 2, v10
	s_waitcnt vmcnt(0)
	ds_bpermute_b32 v10, v12, v2
	ds_bpermute_b32 v11, v12, v3
	;; [unrolled: 1-line block ×3, first 2 shown]
	v_and_b32_e32 v14, 3, v9
	v_cmp_eq_u32_e32 vcc, 1, v14
	v_cmp_eq_u32_e64 s[2:3], 2, v14
	s_waitcnt lgkmcnt(1)
	v_cndmask_b32_e32 v10, v10, v11, vcc
	v_cmp_eq_u32_e64 s[8:9], 3, v14
	ds_bpermute_b32 v11, v12, v2 offset:64
	ds_bpermute_b32 v14, v12, v3 offset:64
	s_waitcnt lgkmcnt(2)
	v_cndmask_b32_e64 v10, v10, v15, s[2:3]
	ds_bpermute_b32 v15, v12, v4 offset:64
	v_add_u32_e32 v1, 48, v1
	v_and_or_b32 v1, v1, 63, v13
	s_waitcnt lgkmcnt(1)
	v_cndmask_b32_e32 v11, v11, v14, vcc
	v_lshlrev_b32_e32 v1, 2, v1
	ds_bpermute_b32 v16, v12, v5
	ds_bpermute_b32 v18, v12, v3 offset:128
	s_waitcnt lgkmcnt(2)
	v_cndmask_b32_e64 v11, v11, v15, s[2:3]
	ds_bpermute_b32 v15, v1, v2
	ds_bpermute_b32 v3, v1, v3
	ds_bpermute_b32 v17, v12, v2 offset:128
	ds_bpermute_b32 v19, v12, v4 offset:128
	ds_bpermute_b32 v4, v1, v4
	s_waitcnt lgkmcnt(0)
	s_barrier
	ds_bpermute_b32 v1, v1, v5
	s_waitcnt lgkmcnt(0)
	s_barrier
	s_load_dword s4, s[4:5], 0x1c
	v_cndmask_b32_e64 v10, v10, v16, s[8:9]
	ds_bpermute_b32 v16, v12, v5 offset:64
	ds_bpermute_b32 v12, v12, v5 offset:128
	v_cndmask_b32_e32 v3, v15, v3, vcc
	v_cndmask_b32_e32 v14, v17, v18, vcc
	v_cndmask_b32_e64 v3, v3, v4, s[2:3]
	v_cndmask_b32_e64 v14, v14, v19, s[2:3]
	;; [unrolled: 1-line block ×3, first 2 shown]
	s_waitcnt lgkmcnt(0)
	s_lshr_b32 s2, s4, 16
	v_bfe_u32 v1, v0, 10, 10
	v_bfe_u32 v0, v0, 20, 10
	s_and_b32 s3, s4, 0xffff
	v_mad_u32_u24 v0, v0, s2, v1
	v_mad_u64_u32 v[0:1], s[2:3], v0, s3, v[6:7]
	v_cndmask_b32_e64 v2, v14, v12, s[8:9]
	v_lshrrev_b32_e32 v12, 6, v0
	v_and_b32_e32 v0, 15, v9
	v_cndmask_b32_e64 v11, v11, v16, s[8:9]
	v_cmp_eq_u32_e64 s[34:35], 0, v0
	v_cmp_lt_u32_e64 s[8:9], 1, v0
	v_cmp_lt_u32_e64 s[10:11], 3, v0
	;; [unrolled: 1-line block ×3, first 2 shown]
	v_and_b32_e32 v0, 16, v9
	v_cmp_eq_u32_e64 s[14:15], 0, v0
	v_and_b32_e32 v0, 0x3c0, v6
	v_min_u32_e32 v0, 0x1c0, v0
	v_or_b32_e32 v0, 63, v0
	v_cmp_eq_u32_e64 s[18:19], v0, v6
	v_add_u32_e32 v0, -1, v9
	v_cmp_lt_i32_e32 vcc, v0, v13
	v_cndmask_b32_e32 v0, v0, v9, vcc
	v_lshlrev_b32_e32 v13, 2, v0
	v_lshrrev_b32_e32 v0, 4, v6
	v_and_b32_e32 v14, 60, v0
	v_and_b32_e32 v0, 7, v9
	s_movk_i32 s33, 0xf00
	v_lshlrev_b32_e32 v4, 2, v7
	v_cmp_eq_u32_e64 s[26:27], 0, v0
	v_cmp_lt_u32_e64 s[28:29], 1, v0
	v_cmp_lt_u32_e64 s[30:31], 3, v0
	v_and_or_b32 v0, v7, s33, v9
	s_mov_b32 s7, 0
	v_add_u32_e32 v5, 32, v4
	v_cmp_lt_u32_e64 s[16:17], 31, v9
	v_cmp_gt_u32_e64 s[20:21], 8, v6
	v_cmp_lt_u32_e64 s[22:23], 63, v6
	v_cmp_eq_u32_e64 s[24:25], 0, v9
	v_cmp_eq_u32_e64 s[2:3], 0, v6
	v_cmp_ne_u32_e64 s[4:5], 0, v6
	v_add_u32_e32 v16, -4, v14
	v_lshlrev_b32_e32 v18, 2, v0
	s_branch .LBB15_4
.LBB15_3:                               ;   in Loop: Header=BB15_4 Depth=1
	v_lshlrev_b32_e32 v2, 2, v22
	s_barrier
	ds_write_b32 v2, v20
	v_lshlrev_b32_e32 v2, 2, v1
	ds_write_b32 v2, v19
	v_lshlrev_b32_e32 v2, 2, v0
	ds_write_b32 v2, v17
	v_lshlrev_b32_e32 v2, 2, v9
	ds_write_b32 v2, v15
	s_waitcnt lgkmcnt(0)
	s_barrier
	ds_read2st64_b32 v[10:11], v18 offset1:1
	ds_read2st64_b32 v[2:3], v18 offset0:2 offset1:3
	s_add_i32 s7, s7, 8
	s_waitcnt lgkmcnt(0)
	s_barrier
	s_cbranch_execz .LBB15_20
.LBB15_4:                               ; =>This Inner Loop Header: Depth=1
	v_mov_b32_e32 v20, v10
	v_bfe_u32 v1, v20, s7, 8
	v_lshl_add_u32 v1, v1, 3, v12
	v_lshl_add_u32 v10, v1, 2, 32
	v_bfe_u32 v1, v20, s7, 1
	v_mov_b32_e32 v17, v2
	v_lshrrev_b32_e32 v0, s7, v20
	v_add_co_u32_e32 v2, vcc, -1, v1
	v_mov_b32_e32 v15, v3
	v_addc_co_u32_e64 v3, s[36:37], 0, -1, vcc
	v_cmp_ne_u32_e32 vcc, 0, v1
	v_lshlrev_b32_e32 v9, 30, v0
	v_xor_b32_e32 v1, vcc_hi, v3
	v_not_b32_e32 v3, v9
	v_xor_b32_e32 v2, vcc_lo, v2
	v_cmp_gt_i64_e32 vcc, 0, v[8:9]
	v_ashrrev_i32_e32 v3, 31, v3
	v_and_b32_e32 v1, exec_hi, v1
	v_xor_b32_e32 v9, vcc_hi, v3
	v_and_b32_e32 v2, exec_lo, v2
	v_xor_b32_e32 v3, vcc_lo, v3
	v_and_b32_e32 v1, v1, v9
	v_lshlrev_b32_e32 v9, 29, v0
	v_and_b32_e32 v2, v2, v3
	v_not_b32_e32 v3, v9
	v_cmp_gt_i64_e32 vcc, 0, v[8:9]
	v_ashrrev_i32_e32 v3, 31, v3
	v_xor_b32_e32 v9, vcc_hi, v3
	v_xor_b32_e32 v3, vcc_lo, v3
	v_and_b32_e32 v1, v1, v9
	v_lshlrev_b32_e32 v9, 28, v0
	v_and_b32_e32 v2, v2, v3
	v_not_b32_e32 v3, v9
	v_cmp_gt_i64_e32 vcc, 0, v[8:9]
	v_ashrrev_i32_e32 v3, 31, v3
	v_xor_b32_e32 v9, vcc_hi, v3
	;; [unrolled: 8-line block ×5, first 2 shown]
	v_and_b32_e32 v1, v1, v9
	v_lshlrev_b32_e32 v9, 24, v0
	v_not_b32_e32 v0, v9
	v_xor_b32_e32 v3, vcc_lo, v3
	v_cmp_gt_i64_e32 vcc, 0, v[8:9]
	v_ashrrev_i32_e32 v0, 31, v0
	v_and_b32_e32 v2, v2, v3
	v_xor_b32_e32 v3, vcc_hi, v0
	v_xor_b32_e32 v0, vcc_lo, v0
	v_and_b32_e32 v0, v2, v0
	v_and_b32_e32 v1, v1, v3
	v_mbcnt_lo_u32_b32 v2, v0, 0
	v_mov_b32_e32 v19, v11
	v_mbcnt_hi_u32_b32 v11, v1, v2
	v_cmp_eq_u32_e32 vcc, 0, v11
	v_cmp_ne_u64_e64 s[36:37], 0, v[0:1]
	s_and_b64 s[40:41], s[36:37], vcc
	ds_write2_b32 v4, v8, v8 offset0:8 offset1:9
	ds_write2_b32 v5, v8, v8 offset0:2 offset1:3
	s_waitcnt lgkmcnt(0)
	s_barrier
	s_waitcnt lgkmcnt(0)
	; wave barrier
	s_and_saveexec_b64 s[36:37], s[40:41]
	s_cbranch_execz .LBB15_6
; %bb.5:                                ;   in Loop: Header=BB15_4 Depth=1
	v_bcnt_u32_b32 v0, v0, 0
	v_bcnt_u32_b32 v0, v1, v0
	ds_write_b32 v10, v0
.LBB15_6:                               ;   in Loop: Header=BB15_4 Depth=1
	s_or_b64 exec, exec, s[36:37]
	v_bfe_u32 v1, v19, s7, 8
	v_lshlrev_b32_e32 v1, 3, v1
	v_add_lshl_u32 v1, v1, v12, 2
	; wave barrier
	v_add_u32_e32 v22, 32, v1
	ds_read_b32 v21, v1 offset:32
	v_bfe_u32 v1, v19, s7, 1
	v_lshrrev_b32_e32 v0, s7, v19
	v_add_co_u32_e32 v2, vcc, -1, v1
	v_addc_co_u32_e64 v3, s[36:37], 0, -1, vcc
	v_cmp_ne_u32_e32 vcc, 0, v1
	v_lshlrev_b32_e32 v9, 30, v0
	v_xor_b32_e32 v1, vcc_hi, v3
	v_not_b32_e32 v3, v9
	v_xor_b32_e32 v2, vcc_lo, v2
	v_cmp_gt_i64_e32 vcc, 0, v[8:9]
	v_ashrrev_i32_e32 v3, 31, v3
	v_and_b32_e32 v1, exec_hi, v1
	v_xor_b32_e32 v9, vcc_hi, v3
	v_and_b32_e32 v2, exec_lo, v2
	v_xor_b32_e32 v3, vcc_lo, v3
	v_and_b32_e32 v1, v1, v9
	v_lshlrev_b32_e32 v9, 29, v0
	v_and_b32_e32 v2, v2, v3
	v_not_b32_e32 v3, v9
	v_cmp_gt_i64_e32 vcc, 0, v[8:9]
	v_ashrrev_i32_e32 v3, 31, v3
	v_xor_b32_e32 v9, vcc_hi, v3
	v_xor_b32_e32 v3, vcc_lo, v3
	v_and_b32_e32 v1, v1, v9
	v_lshlrev_b32_e32 v9, 28, v0
	v_and_b32_e32 v2, v2, v3
	v_not_b32_e32 v3, v9
	v_cmp_gt_i64_e32 vcc, 0, v[8:9]
	v_ashrrev_i32_e32 v3, 31, v3
	v_xor_b32_e32 v9, vcc_hi, v3
	;; [unrolled: 8-line block ×5, first 2 shown]
	v_and_b32_e32 v1, v1, v9
	v_lshlrev_b32_e32 v9, 24, v0
	v_not_b32_e32 v0, v9
	v_xor_b32_e32 v3, vcc_lo, v3
	v_cmp_gt_i64_e32 vcc, 0, v[8:9]
	v_ashrrev_i32_e32 v0, 31, v0
	v_and_b32_e32 v2, v2, v3
	v_xor_b32_e32 v3, vcc_hi, v0
	v_xor_b32_e32 v0, vcc_lo, v0
	v_and_b32_e32 v0, v2, v0
	v_and_b32_e32 v1, v1, v3
	v_mbcnt_lo_u32_b32 v2, v0, 0
	v_mbcnt_hi_u32_b32 v23, v1, v2
	v_cmp_eq_u32_e32 vcc, 0, v23
	v_cmp_ne_u64_e64 s[36:37], 0, v[0:1]
	s_and_b64 s[40:41], s[36:37], vcc
	; wave barrier
	s_and_saveexec_b64 s[36:37], s[40:41]
	s_cbranch_execz .LBB15_8
; %bb.7:                                ;   in Loop: Header=BB15_4 Depth=1
	v_bcnt_u32_b32 v0, v0, 0
	v_bcnt_u32_b32 v0, v1, v0
	s_waitcnt lgkmcnt(0)
	v_add_u32_e32 v0, v21, v0
	ds_write_b32 v22, v0
.LBB15_8:                               ;   in Loop: Header=BB15_4 Depth=1
	s_or_b64 exec, exec, s[36:37]
	v_bfe_u32 v1, v17, s7, 8
	v_lshlrev_b32_e32 v1, 3, v1
	v_add_lshl_u32 v1, v1, v12, 2
	; wave barrier
	v_add_u32_e32 v25, 32, v1
	ds_read_b32 v24, v1 offset:32
	v_bfe_u32 v1, v17, s7, 1
	v_lshrrev_b32_e32 v0, s7, v17
	v_add_co_u32_e32 v2, vcc, -1, v1
	v_addc_co_u32_e64 v3, s[36:37], 0, -1, vcc
	v_cmp_ne_u32_e32 vcc, 0, v1
	v_lshlrev_b32_e32 v9, 30, v0
	v_xor_b32_e32 v1, vcc_hi, v3
	v_not_b32_e32 v3, v9
	v_xor_b32_e32 v2, vcc_lo, v2
	v_cmp_gt_i64_e32 vcc, 0, v[8:9]
	v_ashrrev_i32_e32 v3, 31, v3
	v_and_b32_e32 v1, exec_hi, v1
	v_xor_b32_e32 v9, vcc_hi, v3
	v_and_b32_e32 v2, exec_lo, v2
	v_xor_b32_e32 v3, vcc_lo, v3
	v_and_b32_e32 v1, v1, v9
	v_lshlrev_b32_e32 v9, 29, v0
	v_and_b32_e32 v2, v2, v3
	v_not_b32_e32 v3, v9
	v_cmp_gt_i64_e32 vcc, 0, v[8:9]
	v_ashrrev_i32_e32 v3, 31, v3
	v_xor_b32_e32 v9, vcc_hi, v3
	v_xor_b32_e32 v3, vcc_lo, v3
	v_and_b32_e32 v1, v1, v9
	v_lshlrev_b32_e32 v9, 28, v0
	v_and_b32_e32 v2, v2, v3
	v_not_b32_e32 v3, v9
	v_cmp_gt_i64_e32 vcc, 0, v[8:9]
	v_ashrrev_i32_e32 v3, 31, v3
	v_xor_b32_e32 v9, vcc_hi, v3
	;; [unrolled: 8-line block ×5, first 2 shown]
	v_and_b32_e32 v1, v1, v9
	v_lshlrev_b32_e32 v9, 24, v0
	v_not_b32_e32 v0, v9
	v_xor_b32_e32 v3, vcc_lo, v3
	v_cmp_gt_i64_e32 vcc, 0, v[8:9]
	v_ashrrev_i32_e32 v0, 31, v0
	v_and_b32_e32 v2, v2, v3
	v_xor_b32_e32 v3, vcc_hi, v0
	v_xor_b32_e32 v0, vcc_lo, v0
	v_and_b32_e32 v0, v2, v0
	v_and_b32_e32 v1, v1, v3
	v_mbcnt_lo_u32_b32 v2, v0, 0
	v_mbcnt_hi_u32_b32 v26, v1, v2
	v_cmp_eq_u32_e32 vcc, 0, v26
	v_cmp_ne_u64_e64 s[36:37], 0, v[0:1]
	s_and_b64 s[40:41], s[36:37], vcc
	; wave barrier
	s_and_saveexec_b64 s[36:37], s[40:41]
	s_cbranch_execz .LBB15_10
; %bb.9:                                ;   in Loop: Header=BB15_4 Depth=1
	v_bcnt_u32_b32 v0, v0, 0
	v_bcnt_u32_b32 v0, v1, v0
	s_waitcnt lgkmcnt(0)
	v_add_u32_e32 v0, v24, v0
	ds_write_b32 v25, v0
.LBB15_10:                              ;   in Loop: Header=BB15_4 Depth=1
	s_or_b64 exec, exec, s[36:37]
	v_bfe_u32 v1, v15, s7, 8
	v_lshlrev_b32_e32 v1, 3, v1
	v_add_lshl_u32 v1, v1, v12, 2
	; wave barrier
	v_add_u32_e32 v28, 32, v1
	ds_read_b32 v27, v1 offset:32
	v_bfe_u32 v1, v15, s7, 1
	v_lshrrev_b32_e32 v0, s7, v15
	v_add_co_u32_e32 v2, vcc, -1, v1
	v_addc_co_u32_e64 v3, s[36:37], 0, -1, vcc
	v_cmp_ne_u32_e32 vcc, 0, v1
	v_lshlrev_b32_e32 v9, 30, v0
	v_xor_b32_e32 v1, vcc_hi, v3
	v_not_b32_e32 v3, v9
	v_xor_b32_e32 v2, vcc_lo, v2
	v_cmp_gt_i64_e32 vcc, 0, v[8:9]
	v_ashrrev_i32_e32 v3, 31, v3
	v_and_b32_e32 v1, exec_hi, v1
	v_xor_b32_e32 v9, vcc_hi, v3
	v_and_b32_e32 v2, exec_lo, v2
	v_xor_b32_e32 v3, vcc_lo, v3
	v_and_b32_e32 v1, v1, v9
	v_lshlrev_b32_e32 v9, 29, v0
	v_and_b32_e32 v2, v2, v3
	v_not_b32_e32 v3, v9
	v_cmp_gt_i64_e32 vcc, 0, v[8:9]
	v_ashrrev_i32_e32 v3, 31, v3
	v_xor_b32_e32 v9, vcc_hi, v3
	v_xor_b32_e32 v3, vcc_lo, v3
	v_and_b32_e32 v1, v1, v9
	v_lshlrev_b32_e32 v9, 28, v0
	v_and_b32_e32 v2, v2, v3
	v_not_b32_e32 v3, v9
	v_cmp_gt_i64_e32 vcc, 0, v[8:9]
	v_ashrrev_i32_e32 v3, 31, v3
	v_xor_b32_e32 v9, vcc_hi, v3
	;; [unrolled: 8-line block ×5, first 2 shown]
	v_and_b32_e32 v1, v1, v9
	v_lshlrev_b32_e32 v9, 24, v0
	v_not_b32_e32 v0, v9
	v_xor_b32_e32 v3, vcc_lo, v3
	v_cmp_gt_i64_e32 vcc, 0, v[8:9]
	v_ashrrev_i32_e32 v0, 31, v0
	v_and_b32_e32 v2, v2, v3
	v_xor_b32_e32 v3, vcc_hi, v0
	v_xor_b32_e32 v0, vcc_lo, v0
	v_and_b32_e32 v0, v2, v0
	v_and_b32_e32 v1, v1, v3
	v_mbcnt_lo_u32_b32 v2, v0, 0
	v_mbcnt_hi_u32_b32 v9, v1, v2
	v_cmp_eq_u32_e32 vcc, 0, v9
	v_cmp_ne_u64_e64 s[36:37], 0, v[0:1]
	s_and_b64 s[40:41], s[36:37], vcc
	; wave barrier
	s_and_saveexec_b64 s[36:37], s[40:41]
	s_cbranch_execz .LBB15_12
; %bb.11:                               ;   in Loop: Header=BB15_4 Depth=1
	v_bcnt_u32_b32 v0, v0, 0
	v_bcnt_u32_b32 v0, v1, v0
	s_waitcnt lgkmcnt(0)
	v_add_u32_e32 v0, v27, v0
	ds_write_b32 v28, v0
.LBB15_12:                              ;   in Loop: Header=BB15_4 Depth=1
	s_or_b64 exec, exec, s[36:37]
	; wave barrier
	s_waitcnt lgkmcnt(0)
	s_barrier
	ds_read2_b32 v[2:3], v4 offset0:8 offset1:9
	ds_read2_b32 v[0:1], v5 offset0:2 offset1:3
	s_waitcnt lgkmcnt(1)
	v_add_u32_e32 v29, v3, v2
	s_waitcnt lgkmcnt(0)
	v_add3_u32 v1, v29, v0, v1
	s_nop 1
	v_mov_b32_dpp v29, v1 row_shr:1 row_mask:0xf bank_mask:0xf
	v_cndmask_b32_e64 v29, v29, 0, s[34:35]
	v_add_u32_e32 v1, v29, v1
	s_nop 1
	v_mov_b32_dpp v29, v1 row_shr:2 row_mask:0xf bank_mask:0xf
	v_cndmask_b32_e64 v29, 0, v29, s[8:9]
	v_add_u32_e32 v1, v1, v29
	;; [unrolled: 4-line block ×4, first 2 shown]
	s_nop 1
	v_mov_b32_dpp v29, v1 row_bcast:15 row_mask:0xf bank_mask:0xf
	v_cndmask_b32_e64 v29, v29, 0, s[14:15]
	v_add_u32_e32 v1, v1, v29
	s_nop 1
	v_mov_b32_dpp v29, v1 row_bcast:31 row_mask:0xf bank_mask:0xf
	v_cndmask_b32_e64 v29, 0, v29, s[16:17]
	v_add_u32_e32 v1, v1, v29
	s_and_saveexec_b64 s[36:37], s[18:19]
	s_cbranch_execz .LBB15_14
; %bb.13:                               ;   in Loop: Header=BB15_4 Depth=1
	ds_write_b32 v14, v1
.LBB15_14:                              ;   in Loop: Header=BB15_4 Depth=1
	s_or_b64 exec, exec, s[36:37]
	s_waitcnt lgkmcnt(0)
	s_barrier
	s_and_saveexec_b64 s[36:37], s[20:21]
	s_cbranch_execz .LBB15_16
; %bb.15:                               ;   in Loop: Header=BB15_4 Depth=1
	ds_read_b32 v29, v7
	s_waitcnt lgkmcnt(0)
	s_nop 0
	v_mov_b32_dpp v30, v29 row_shr:1 row_mask:0xf bank_mask:0xf
	v_cndmask_b32_e64 v30, v30, 0, s[26:27]
	v_add_u32_e32 v29, v30, v29
	s_nop 1
	v_mov_b32_dpp v30, v29 row_shr:2 row_mask:0xf bank_mask:0xf
	v_cndmask_b32_e64 v30, 0, v30, s[28:29]
	v_add_u32_e32 v29, v29, v30
	;; [unrolled: 4-line block ×3, first 2 shown]
	ds_write_b32 v7, v29
.LBB15_16:                              ;   in Loop: Header=BB15_4 Depth=1
	s_or_b64 exec, exec, s[36:37]
	v_mov_b32_e32 v29, 0
	s_waitcnt lgkmcnt(0)
	s_barrier
	s_and_saveexec_b64 s[36:37], s[22:23]
	s_cbranch_execz .LBB15_18
; %bb.17:                               ;   in Loop: Header=BB15_4 Depth=1
	ds_read_b32 v29, v16
.LBB15_18:                              ;   in Loop: Header=BB15_4 Depth=1
	s_or_b64 exec, exec, s[36:37]
	s_waitcnt lgkmcnt(0)
	v_add_u32_e32 v1, v29, v1
	ds_bpermute_b32 v1, v13, v1
	s_cmp_gt_u32 s7, 23
	s_waitcnt lgkmcnt(0)
	v_cndmask_b32_e64 v1, v1, v29, s[24:25]
	v_cndmask_b32_e64 v1, v1, 0, s[2:3]
	v_add_u32_e32 v2, v1, v2
	v_add_u32_e32 v3, v2, v3
	;; [unrolled: 1-line block ×3, first 2 shown]
	ds_write2_b32 v4, v1, v2 offset0:8 offset1:9
	ds_write2_b32 v5, v3, v0 offset0:2 offset1:3
	s_waitcnt lgkmcnt(0)
	s_barrier
	ds_read_b32 v0, v10
	ds_read_b32 v1, v22
	;; [unrolled: 1-line block ×4, first 2 shown]
	s_waitcnt lgkmcnt(3)
	v_add_u32_e32 v22, v0, v11
	s_waitcnt lgkmcnt(2)
	v_add3_u32 v1, v23, v21, v1
	s_waitcnt lgkmcnt(1)
	v_add3_u32 v0, v26, v24, v2
	;; [unrolled: 2-line block ×3, first 2 shown]
	s_cbranch_scc0 .LBB15_3
; %bb.19:
                                        ; implicit-def: $vgpr3
                                        ; implicit-def: $vgpr11
                                        ; implicit-def: $sgpr7
.LBB15_20:
	v_lshlrev_b32_e32 v2, 2, v22
	v_lshlrev_b32_e32 v1, 2, v1
	;; [unrolled: 1-line block ×3, first 2 shown]
	s_barrier
	ds_write_b32 v2, v20
	ds_write_b32 v1, v19
	;; [unrolled: 1-line block ×3, first 2 shown]
	v_lshlrev_b32_e32 v0, 2, v9
	ds_write_b32 v0, v15
	s_waitcnt lgkmcnt(0)
	s_barrier
	ds_read2_b32 v[0:1], v4 offset1:1
	ds_read2_b32 v[2:3], v4 offset0:2 offset1:3
	s_waitcnt lgkmcnt(0)
	s_barrier
	s_and_saveexec_b64 s[8:9], s[0:1]
	s_cbranch_execz .LBB15_22
; %bb.21:
	v_mov_b32_e32 v4, 0x800
	ds_write2st64_b32 v7, v4, v4 offset0:16 offset1:24
.LBB15_22:
	s_or_b64 exec, exec, s[8:9]
	v_cmp_ne_u32_e32 vcc, v2, v3
	v_lshlrev_b32_e32 v4, 2, v2
	s_waitcnt lgkmcnt(0)
	s_barrier
	ds_write_b32 v7, v3
	s_and_saveexec_b64 s[8:9], vcc
	s_cbranch_execz .LBB15_24
; %bb.23:
	v_or_b32_e32 v5, 3, v7
	v_lshlrev_b32_e32 v3, 2, v3
	ds_write_b32 v3, v5 offset:4096
	ds_write_b32 v4, v5 offset:6144
.LBB15_24:
	s_or_b64 exec, exec, s[8:9]
	v_cmp_ne_u32_e32 vcc, v1, v2
	v_lshlrev_b32_e32 v2, 2, v1
	s_and_saveexec_b64 s[8:9], vcc
	s_cbranch_execz .LBB15_26
; %bb.25:
	v_or_b32_e32 v3, 2, v7
	ds_write_b32 v4, v3 offset:4096
	ds_write_b32 v2, v3 offset:6144
.LBB15_26:
	s_or_b64 exec, exec, s[8:9]
	v_cmp_ne_u32_e32 vcc, v0, v1
	v_lshlrev_b32_e32 v1, 2, v0
	s_and_saveexec_b64 s[8:9], vcc
	s_cbranch_execz .LBB15_28
; %bb.27:
	v_or_b32_e32 v3, 1, v7
	ds_write_b32 v2, v3 offset:4096
	ds_write_b32 v1, v3 offset:6144
.LBB15_28:
	s_or_b64 exec, exec, s[8:9]
	s_waitcnt lgkmcnt(0)
	s_barrier
	s_and_saveexec_b64 s[8:9], s[4:5]
	s_cbranch_execz .LBB15_31
; %bb.29:
	v_add_u32_e32 v2, -4, v7
	ds_read_b32 v3, v2
	s_waitcnt lgkmcnt(0)
	v_cmp_ne_u32_e32 vcc, v3, v0
	s_and_b64 exec, exec, vcc
	s_cbranch_execz .LBB15_31
; %bb.30:
	ds_write_b32 v1, v7 offset:4096
	ds_read_b32 v0, v2
	s_waitcnt lgkmcnt(0)
	v_lshlrev_b32_e32 v0, 2, v0
	ds_write_b32 v0, v7 offset:6144
.LBB15_31:
	s_or_b64 exec, exec, s[8:9]
	s_waitcnt lgkmcnt(0)
	s_barrier
	s_and_saveexec_b64 s[4:5], s[2:3]
	s_cbranch_execz .LBB15_33
; %bb.32:
	v_mov_b32_e32 v0, 0
	ds_write_b32 v1, v0 offset:4096
.LBB15_33:
	s_or_b64 exec, exec, s[4:5]
	s_waitcnt lgkmcnt(0)
	s_barrier
	s_and_saveexec_b64 s[2:3], s[0:1]
	s_cbranch_execz .LBB15_35
; %bb.34:
	ds_read2st64_b32 v[0:1], v7 offset0:16 offset1:24
	ds_read_b32 v2, v7 offset:8224
	s_waitcnt lgkmcnt(1)
	v_sub_u32_e32 v0, v1, v0
	s_waitcnt lgkmcnt(0)
	v_add_u32_e32 v0, v0, v2
	ds_write_b32 v7, v0 offset:8224
.LBB15_35:
	s_or_b64 exec, exec, s[2:3]
	s_waitcnt lgkmcnt(0)
	s_barrier
	s_and_saveexec_b64 s[2:3], s[0:1]
	s_cbranch_execz .LBB15_37
; %bb.36:
	ds_read_b32 v3, v7 offset:8224
	v_lshl_or_b32 v0, s6, 9, v6
	v_mov_b32_e32 v1, 0
	v_lshlrev_b64 v[0:1], 2, v[0:1]
	v_mov_b32_e32 v2, s39
	v_add_co_u32_e32 v0, vcc, s38, v0
	v_addc_co_u32_e32 v1, vcc, v2, v1, vcc
	s_waitcnt lgkmcnt(0)
	global_store_dword v[0:1], v3, off
.LBB15_37:
	s_endpgm
	.section	.rodata,"a",@progbits
	.p2align	6, 0x0
	.amdhsa_kernel _Z16histogram_kernelILj512ELj4ELj512ELN6hipcub23BlockHistogramAlgorithmE1EjEvPT3_S3_
		.amdhsa_group_segment_fixed_size 10272
		.amdhsa_private_segment_fixed_size 0
		.amdhsa_kernarg_size 272
		.amdhsa_user_sgpr_count 6
		.amdhsa_user_sgpr_private_segment_buffer 1
		.amdhsa_user_sgpr_dispatch_ptr 0
		.amdhsa_user_sgpr_queue_ptr 0
		.amdhsa_user_sgpr_kernarg_segment_ptr 1
		.amdhsa_user_sgpr_dispatch_id 0
		.amdhsa_user_sgpr_flat_scratch_init 0
		.amdhsa_user_sgpr_kernarg_preload_length 0
		.amdhsa_user_sgpr_kernarg_preload_offset 0
		.amdhsa_user_sgpr_private_segment_size 0
		.amdhsa_uses_dynamic_stack 0
		.amdhsa_system_sgpr_private_segment_wavefront_offset 0
		.amdhsa_system_sgpr_workgroup_id_x 1
		.amdhsa_system_sgpr_workgroup_id_y 0
		.amdhsa_system_sgpr_workgroup_id_z 0
		.amdhsa_system_sgpr_workgroup_info 0
		.amdhsa_system_vgpr_workitem_id 2
		.amdhsa_next_free_vgpr 31
		.amdhsa_next_free_sgpr 42
		.amdhsa_accum_offset 32
		.amdhsa_reserve_vcc 1
		.amdhsa_reserve_flat_scratch 0
		.amdhsa_float_round_mode_32 0
		.amdhsa_float_round_mode_16_64 0
		.amdhsa_float_denorm_mode_32 3
		.amdhsa_float_denorm_mode_16_64 3
		.amdhsa_dx10_clamp 1
		.amdhsa_ieee_mode 1
		.amdhsa_fp16_overflow 0
		.amdhsa_tg_split 0
		.amdhsa_exception_fp_ieee_invalid_op 0
		.amdhsa_exception_fp_denorm_src 0
		.amdhsa_exception_fp_ieee_div_zero 0
		.amdhsa_exception_fp_ieee_overflow 0
		.amdhsa_exception_fp_ieee_underflow 0
		.amdhsa_exception_fp_ieee_inexact 0
		.amdhsa_exception_int_div_zero 0
	.end_amdhsa_kernel
	.section	.text._Z16histogram_kernelILj512ELj4ELj512ELN6hipcub23BlockHistogramAlgorithmE1EjEvPT3_S3_,"axG",@progbits,_Z16histogram_kernelILj512ELj4ELj512ELN6hipcub23BlockHistogramAlgorithmE1EjEvPT3_S3_,comdat
.Lfunc_end15:
	.size	_Z16histogram_kernelILj512ELj4ELj512ELN6hipcub23BlockHistogramAlgorithmE1EjEvPT3_S3_, .Lfunc_end15-_Z16histogram_kernelILj512ELj4ELj512ELN6hipcub23BlockHistogramAlgorithmE1EjEvPT3_S3_
                                        ; -- End function
	.section	.AMDGPU.csdata,"",@progbits
; Kernel info:
; codeLenInByte = 3316
; NumSgprs: 46
; NumVgprs: 31
; NumAgprs: 0
; TotalNumVgprs: 31
; ScratchSize: 0
; MemoryBound: 0
; FloatMode: 240
; IeeeMode: 1
; LDSByteSize: 10272 bytes/workgroup (compile time only)
; SGPRBlocks: 5
; VGPRBlocks: 3
; NumSGPRsForWavesPerEU: 46
; NumVGPRsForWavesPerEU: 31
; AccumOffset: 32
; Occupancy: 8
; WaveLimiterHint : 0
; COMPUTE_PGM_RSRC2:SCRATCH_EN: 0
; COMPUTE_PGM_RSRC2:USER_SGPR: 6
; COMPUTE_PGM_RSRC2:TRAP_HANDLER: 0
; COMPUTE_PGM_RSRC2:TGID_X_EN: 1
; COMPUTE_PGM_RSRC2:TGID_Y_EN: 0
; COMPUTE_PGM_RSRC2:TGID_Z_EN: 0
; COMPUTE_PGM_RSRC2:TIDIG_COMP_CNT: 2
; COMPUTE_PGM_RSRC3_GFX90A:ACCUM_OFFSET: 7
; COMPUTE_PGM_RSRC3_GFX90A:TG_SPLIT: 0
	.section	.text._Z16histogram_kernelILj256ELj3ELj512ELN6hipcub23BlockHistogramAlgorithmE1EjEvPT3_S3_,"axG",@progbits,_Z16histogram_kernelILj256ELj3ELj512ELN6hipcub23BlockHistogramAlgorithmE1EjEvPT3_S3_,comdat
	.protected	_Z16histogram_kernelILj256ELj3ELj512ELN6hipcub23BlockHistogramAlgorithmE1EjEvPT3_S3_ ; -- Begin function _Z16histogram_kernelILj256ELj3ELj512ELN6hipcub23BlockHistogramAlgorithmE1EjEvPT3_S3_
	.globl	_Z16histogram_kernelILj256ELj3ELj512ELN6hipcub23BlockHistogramAlgorithmE1EjEvPT3_S3_
	.p2align	8
	.type	_Z16histogram_kernelILj256ELj3ELj512ELN6hipcub23BlockHistogramAlgorithmE1EjEvPT3_S3_,@function
_Z16histogram_kernelILj256ELj3ELj512ELN6hipcub23BlockHistogramAlgorithmE1EjEvPT3_S3_: ; @_Z16histogram_kernelILj256ELj3ELj512ELN6hipcub23BlockHistogramAlgorithmE1EjEvPT3_S3_
; %bb.0:
	s_load_dwordx4 s[36:39], s[4:5], 0x0
	v_and_b32_e32 v2, 0x3ff, v0
	v_lshl_or_b32 v1, s6, 8, v2
	v_lshl_add_u32 v4, v1, 1, v1
	v_mov_b32_e32 v5, 0
	v_lshlrev_b64 v[6:7], 2, v[4:5]
	s_waitcnt lgkmcnt(0)
	v_mov_b32_e32 v1, s37
	v_add_co_u32_e32 v8, vcc, s36, v6
	v_addc_co_u32_e32 v9, vcc, v1, v7, vcc
	v_add_u32_e32 v6, 1, v4
	v_mov_b32_e32 v7, v5
	v_lshlrev_b64 v[6:7], 2, v[6:7]
	v_add_co_u32_e32 v10, vcc, s36, v6
	v_add_u32_e32 v4, 2, v4
	v_addc_co_u32_e32 v11, vcc, v1, v7, vcc
	v_lshlrev_b64 v[6:7], 2, v[4:5]
	v_add_co_u32_e32 v12, vcc, s36, v6
	v_addc_co_u32_e32 v13, vcc, v1, v7, vcc
	global_load_dword v1, v[8:9], off
	global_load_dword v4, v[10:11], off
	;; [unrolled: 1-line block ×3, first 2 shown]
	s_movk_i32 s0, 0x200
	v_cmp_gt_u32_e64 s[2:3], s0, v2
	v_lshlrev_b32_e32 v3, 2, v2
	s_and_saveexec_b64 s[0:1], s[2:3]
	s_cbranch_execz .LBB16_2
; %bb.1:
	ds_write_b32 v3, v5 offset:6144
.LBB16_2:
	s_or_b64 exec, exec, s[0:1]
	s_movk_i32 s0, 0x100
	v_cmp_gt_u32_e64 s[0:1], s0, v2
	s_and_saveexec_b64 s[8:9], s[0:1]
	s_cbranch_execz .LBB16_4
; %bb.3:
	v_mov_b32_e32 v5, 0
	ds_write_b32 v3, v5 offset:7168
.LBB16_4:
	s_or_b64 exec, exec, s[8:9]
	v_mbcnt_lo_u32_b32 v5, -1, 0
	v_mbcnt_hi_u32_b32 v13, -1, v5
	v_lshrrev_b32_e32 v12, 6, v2
	v_mul_u32_u24_e32 v5, 0xc0, v12
	v_mul_u32_u24_e32 v7, 3, v13
	v_add_lshl_u32 v7, v7, v5, 2
	s_waitcnt lgkmcnt(0)
	s_barrier
	s_waitcnt vmcnt(1)
	ds_write2_b32 v7, v1, v4 offset1:1
	s_waitcnt vmcnt(0)
	ds_write_b32 v7, v6 offset:8
	v_add_lshl_u32 v1, v13, v5, 2
	; wave barrier
	ds_read2st64_b32 v[4:5], v1 offset1:1
	ds_read_b32 v1, v1 offset:512
	s_waitcnt lgkmcnt(0)
	s_barrier
	s_waitcnt lgkmcnt(0)
	; wave barrier
	s_barrier
	s_load_dword s4, s[4:5], 0x1c
	v_bfe_u32 v6, v0, 10, 10
	v_bfe_u32 v0, v0, 20, 10
	v_lshlrev_b32_e32 v8, 4, v2
	v_lshlrev_b32_e32 v12, 2, v12
	s_waitcnt lgkmcnt(0)
	s_lshr_b32 s5, s4, 16
	s_and_b32 s4, s4, 0xffff
	v_mad_u32_u24 v0, v0, s5, v6
	v_mad_u64_u32 v[6:7], s[4:5], v0, s4, v[2:3]
	v_and_b32_e32 v0, 15, v13
	v_cmp_eq_u32_e64 s[8:9], 0, v0
	v_cmp_lt_u32_e64 s[10:11], 1, v0
	v_cmp_lt_u32_e64 s[12:13], 3, v0
	;; [unrolled: 1-line block ×3, first 2 shown]
	v_and_b32_e32 v0, 16, v13
	v_cmp_eq_u32_e64 s[16:17], 0, v0
	v_and_b32_e32 v0, 0x3c0, v2
	v_lshrrev_b32_e32 v10, 6, v6
	v_min_u32_e32 v6, 0xc0, v0
	v_or_b32_e32 v6, 63, v6
	v_cmp_eq_u32_e64 s[20:21], v6, v2
	v_add_u32_e32 v6, -1, v13
	v_and_b32_e32 v7, 64, v13
	v_cmp_lt_i32_e32 vcc, v6, v7
	v_cndmask_b32_e32 v6, v6, v13, vcc
	v_lshlrev_b32_e32 v11, 2, v6
	v_and_b32_e32 v6, 3, v13
	v_mul_u32_u24_e32 v0, 3, v0
	s_mov_b32 s7, 0
	v_add_u32_e32 v9, 16, v8
	v_cmp_lt_u32_e64 s[18:19], 31, v13
	v_cmp_gt_u32_e64 s[22:23], 4, v2
	v_cmp_lt_u32_e64 s[24:25], 63, v2
	v_cmp_eq_u32_e64 s[26:27], 0, v13
	v_cmp_eq_u32_e64 s[4:5], 0, v2
	v_cmp_ne_u32_e64 s[34:35], 0, v2
	v_cmp_eq_u32_e64 s[28:29], 0, v6
	v_cmp_lt_u32_e64 s[30:31], 1, v6
	v_add_u32_e32 v14, -4, v12
	v_add_lshl_u32 v15, v13, v0, 2
	v_mov_b32_e32 v0, 0
	s_branch .LBB16_6
.LBB16_5:                               ;   in Loop: Header=BB16_6 Depth=1
	v_lshlrev_b32_e32 v1, 2, v7
	s_barrier
	ds_write_b32 v1, v17
	v_lshlrev_b32_e32 v1, 2, v6
	ds_write_b32 v1, v16
	v_lshlrev_b32_e32 v1, 2, v18
	ds_write_b32 v1, v13
	s_waitcnt lgkmcnt(0)
	s_barrier
	ds_read2st64_b32 v[4:5], v15 offset1:1
	ds_read_b32 v1, v15 offset:512
	s_add_i32 s7, s7, 8
	s_waitcnt lgkmcnt(0)
	s_barrier
	s_cbranch_execz .LBB16_20
.LBB16_6:                               ; =>This Inner Loop Header: Depth=1
	v_mov_b32_e32 v17, v4
	v_mov_b32_e32 v13, v1
	v_bfe_u32 v1, v17, s7, 8
	v_lshl_add_u32 v1, v1, 2, v10
	v_lshl_add_u32 v18, v1, 2, 16
	v_bfe_u32 v1, v17, s7, 1
	v_mov_b32_e32 v16, v5
	v_add_co_u32_e32 v5, vcc, -1, v1
	v_addc_co_u32_e64 v6, s[36:37], 0, -1, vcc
	v_cmp_ne_u32_e32 vcc, 0, v1
	v_lshrrev_b32_e32 v4, s7, v17
	v_xor_b32_e32 v1, vcc_hi, v6
	v_and_b32_e32 v6, exec_hi, v1
	v_lshlrev_b32_e32 v1, 30, v4
	v_xor_b32_e32 v5, vcc_lo, v5
	v_cmp_gt_i64_e32 vcc, 0, v[0:1]
	v_not_b32_e32 v1, v1
	v_ashrrev_i32_e32 v1, 31, v1
	v_and_b32_e32 v5, exec_lo, v5
	v_xor_b32_e32 v7, vcc_hi, v1
	v_xor_b32_e32 v1, vcc_lo, v1
	v_and_b32_e32 v5, v5, v1
	v_lshlrev_b32_e32 v1, 29, v4
	v_cmp_gt_i64_e32 vcc, 0, v[0:1]
	v_not_b32_e32 v1, v1
	v_ashrrev_i32_e32 v1, 31, v1
	v_and_b32_e32 v6, v6, v7
	v_xor_b32_e32 v7, vcc_hi, v1
	v_xor_b32_e32 v1, vcc_lo, v1
	v_and_b32_e32 v5, v5, v1
	v_lshlrev_b32_e32 v1, 28, v4
	v_cmp_gt_i64_e32 vcc, 0, v[0:1]
	v_not_b32_e32 v1, v1
	v_ashrrev_i32_e32 v1, 31, v1
	v_and_b32_e32 v6, v6, v7
	;; [unrolled: 8-line block ×5, first 2 shown]
	v_xor_b32_e32 v7, vcc_hi, v1
	v_xor_b32_e32 v1, vcc_lo, v1
	v_and_b32_e32 v6, v6, v7
	v_and_b32_e32 v7, v5, v1
	v_lshlrev_b32_e32 v1, 24, v4
	v_cmp_gt_i64_e32 vcc, 0, v[0:1]
	v_not_b32_e32 v1, v1
	v_ashrrev_i32_e32 v1, 31, v1
	v_xor_b32_e32 v4, vcc_hi, v1
	v_xor_b32_e32 v1, vcc_lo, v1
	v_and_b32_e32 v5, v6, v4
	v_and_b32_e32 v4, v7, v1
	v_mbcnt_lo_u32_b32 v1, v4, 0
	v_mbcnt_hi_u32_b32 v19, v5, v1
	v_cmp_eq_u32_e32 vcc, 0, v19
	v_cmp_ne_u64_e64 s[36:37], 0, v[4:5]
	s_and_b64 s[40:41], s[36:37], vcc
	ds_write2_b32 v8, v0, v0 offset0:4 offset1:5
	ds_write2_b32 v9, v0, v0 offset0:2 offset1:3
	s_waitcnt lgkmcnt(0)
	s_barrier
	s_waitcnt lgkmcnt(0)
	; wave barrier
	s_and_saveexec_b64 s[36:37], s[40:41]
	s_cbranch_execz .LBB16_8
; %bb.7:                                ;   in Loop: Header=BB16_6 Depth=1
	v_bcnt_u32_b32 v1, v4, 0
	v_bcnt_u32_b32 v1, v5, v1
	ds_write_b32 v18, v1
.LBB16_8:                               ;   in Loop: Header=BB16_6 Depth=1
	s_or_b64 exec, exec, s[36:37]
	v_bfe_u32 v1, v16, s7, 8
	v_lshlrev_b32_e32 v1, 2, v1
	v_add_lshl_u32 v1, v1, v10, 2
	; wave barrier
	v_add_u32_e32 v21, 16, v1
	ds_read_b32 v20, v1 offset:16
	v_bfe_u32 v1, v16, s7, 1
	v_add_co_u32_e32 v5, vcc, -1, v1
	v_addc_co_u32_e64 v6, s[36:37], 0, -1, vcc
	v_cmp_ne_u32_e32 vcc, 0, v1
	v_lshrrev_b32_e32 v4, s7, v16
	v_xor_b32_e32 v1, vcc_hi, v6
	v_and_b32_e32 v6, exec_hi, v1
	v_lshlrev_b32_e32 v1, 30, v4
	v_xor_b32_e32 v5, vcc_lo, v5
	v_cmp_gt_i64_e32 vcc, 0, v[0:1]
	v_not_b32_e32 v1, v1
	v_ashrrev_i32_e32 v1, 31, v1
	v_and_b32_e32 v5, exec_lo, v5
	v_xor_b32_e32 v7, vcc_hi, v1
	v_xor_b32_e32 v1, vcc_lo, v1
	v_and_b32_e32 v5, v5, v1
	v_lshlrev_b32_e32 v1, 29, v4
	v_cmp_gt_i64_e32 vcc, 0, v[0:1]
	v_not_b32_e32 v1, v1
	v_ashrrev_i32_e32 v1, 31, v1
	v_and_b32_e32 v6, v6, v7
	v_xor_b32_e32 v7, vcc_hi, v1
	v_xor_b32_e32 v1, vcc_lo, v1
	v_and_b32_e32 v5, v5, v1
	v_lshlrev_b32_e32 v1, 28, v4
	v_cmp_gt_i64_e32 vcc, 0, v[0:1]
	v_not_b32_e32 v1, v1
	v_ashrrev_i32_e32 v1, 31, v1
	v_and_b32_e32 v6, v6, v7
	;; [unrolled: 8-line block ×5, first 2 shown]
	v_xor_b32_e32 v7, vcc_hi, v1
	v_xor_b32_e32 v1, vcc_lo, v1
	v_and_b32_e32 v6, v6, v7
	v_and_b32_e32 v7, v5, v1
	v_lshlrev_b32_e32 v1, 24, v4
	v_cmp_gt_i64_e32 vcc, 0, v[0:1]
	v_not_b32_e32 v1, v1
	v_ashrrev_i32_e32 v1, 31, v1
	v_xor_b32_e32 v4, vcc_hi, v1
	v_xor_b32_e32 v1, vcc_lo, v1
	v_and_b32_e32 v5, v6, v4
	v_and_b32_e32 v4, v7, v1
	v_mbcnt_lo_u32_b32 v1, v4, 0
	v_mbcnt_hi_u32_b32 v22, v5, v1
	v_cmp_eq_u32_e32 vcc, 0, v22
	v_cmp_ne_u64_e64 s[36:37], 0, v[4:5]
	s_and_b64 s[40:41], s[36:37], vcc
	; wave barrier
	s_and_saveexec_b64 s[36:37], s[40:41]
	s_cbranch_execz .LBB16_10
; %bb.9:                                ;   in Loop: Header=BB16_6 Depth=1
	v_bcnt_u32_b32 v1, v4, 0
	v_bcnt_u32_b32 v1, v5, v1
	s_waitcnt lgkmcnt(0)
	v_add_u32_e32 v1, v20, v1
	ds_write_b32 v21, v1
.LBB16_10:                              ;   in Loop: Header=BB16_6 Depth=1
	s_or_b64 exec, exec, s[36:37]
	v_bfe_u32 v1, v13, s7, 8
	v_lshlrev_b32_e32 v1, 2, v1
	v_add_lshl_u32 v1, v1, v10, 2
	; wave barrier
	v_add_u32_e32 v24, 16, v1
	ds_read_b32 v23, v1 offset:16
	v_bfe_u32 v1, v13, s7, 1
	v_add_co_u32_e32 v5, vcc, -1, v1
	v_addc_co_u32_e64 v6, s[36:37], 0, -1, vcc
	v_cmp_ne_u32_e32 vcc, 0, v1
	v_lshrrev_b32_e32 v4, s7, v13
	v_xor_b32_e32 v1, vcc_hi, v6
	v_and_b32_e32 v6, exec_hi, v1
	v_lshlrev_b32_e32 v1, 30, v4
	v_xor_b32_e32 v5, vcc_lo, v5
	v_cmp_gt_i64_e32 vcc, 0, v[0:1]
	v_not_b32_e32 v1, v1
	v_ashrrev_i32_e32 v1, 31, v1
	v_and_b32_e32 v5, exec_lo, v5
	v_xor_b32_e32 v7, vcc_hi, v1
	v_xor_b32_e32 v1, vcc_lo, v1
	v_and_b32_e32 v5, v5, v1
	v_lshlrev_b32_e32 v1, 29, v4
	v_cmp_gt_i64_e32 vcc, 0, v[0:1]
	v_not_b32_e32 v1, v1
	v_ashrrev_i32_e32 v1, 31, v1
	v_and_b32_e32 v6, v6, v7
	v_xor_b32_e32 v7, vcc_hi, v1
	v_xor_b32_e32 v1, vcc_lo, v1
	v_and_b32_e32 v5, v5, v1
	v_lshlrev_b32_e32 v1, 28, v4
	v_cmp_gt_i64_e32 vcc, 0, v[0:1]
	v_not_b32_e32 v1, v1
	v_ashrrev_i32_e32 v1, 31, v1
	v_and_b32_e32 v6, v6, v7
	;; [unrolled: 8-line block ×5, first 2 shown]
	v_xor_b32_e32 v7, vcc_hi, v1
	v_xor_b32_e32 v1, vcc_lo, v1
	v_and_b32_e32 v6, v6, v7
	v_and_b32_e32 v7, v5, v1
	v_lshlrev_b32_e32 v1, 24, v4
	v_cmp_gt_i64_e32 vcc, 0, v[0:1]
	v_not_b32_e32 v1, v1
	v_ashrrev_i32_e32 v1, 31, v1
	v_xor_b32_e32 v4, vcc_hi, v1
	v_xor_b32_e32 v1, vcc_lo, v1
	v_and_b32_e32 v5, v6, v4
	v_and_b32_e32 v4, v7, v1
	v_mbcnt_lo_u32_b32 v1, v4, 0
	v_mbcnt_hi_u32_b32 v1, v5, v1
	v_cmp_eq_u32_e32 vcc, 0, v1
	v_cmp_ne_u64_e64 s[36:37], 0, v[4:5]
	s_and_b64 s[40:41], s[36:37], vcc
	; wave barrier
	s_and_saveexec_b64 s[36:37], s[40:41]
	s_cbranch_execz .LBB16_12
; %bb.11:                               ;   in Loop: Header=BB16_6 Depth=1
	v_bcnt_u32_b32 v4, v4, 0
	v_bcnt_u32_b32 v4, v5, v4
	s_waitcnt lgkmcnt(0)
	v_add_u32_e32 v4, v23, v4
	ds_write_b32 v24, v4
.LBB16_12:                              ;   in Loop: Header=BB16_6 Depth=1
	s_or_b64 exec, exec, s[36:37]
	; wave barrier
	s_waitcnt lgkmcnt(0)
	s_barrier
	ds_read2_b32 v[6:7], v8 offset0:4 offset1:5
	ds_read2_b32 v[4:5], v9 offset0:2 offset1:3
	s_waitcnt lgkmcnt(1)
	v_add_u32_e32 v25, v7, v6
	s_waitcnt lgkmcnt(0)
	v_add3_u32 v5, v25, v4, v5
	s_nop 1
	v_mov_b32_dpp v25, v5 row_shr:1 row_mask:0xf bank_mask:0xf
	v_cndmask_b32_e64 v25, v25, 0, s[8:9]
	v_add_u32_e32 v5, v25, v5
	s_nop 1
	v_mov_b32_dpp v25, v5 row_shr:2 row_mask:0xf bank_mask:0xf
	v_cndmask_b32_e64 v25, 0, v25, s[10:11]
	v_add_u32_e32 v5, v5, v25
	;; [unrolled: 4-line block ×4, first 2 shown]
	s_nop 1
	v_mov_b32_dpp v25, v5 row_bcast:15 row_mask:0xf bank_mask:0xf
	v_cndmask_b32_e64 v25, v25, 0, s[16:17]
	v_add_u32_e32 v5, v5, v25
	s_nop 1
	v_mov_b32_dpp v25, v5 row_bcast:31 row_mask:0xf bank_mask:0xf
	v_cndmask_b32_e64 v25, 0, v25, s[18:19]
	v_add_u32_e32 v5, v5, v25
	s_and_saveexec_b64 s[36:37], s[20:21]
	s_cbranch_execz .LBB16_14
; %bb.13:                               ;   in Loop: Header=BB16_6 Depth=1
	ds_write_b32 v12, v5
.LBB16_14:                              ;   in Loop: Header=BB16_6 Depth=1
	s_or_b64 exec, exec, s[36:37]
	s_waitcnt lgkmcnt(0)
	s_barrier
	s_and_saveexec_b64 s[36:37], s[22:23]
	s_cbranch_execz .LBB16_16
; %bb.15:                               ;   in Loop: Header=BB16_6 Depth=1
	ds_read_b32 v25, v3
	s_waitcnt lgkmcnt(0)
	s_nop 0
	v_mov_b32_dpp v26, v25 row_shr:1 row_mask:0xf bank_mask:0xf
	v_cndmask_b32_e64 v26, v26, 0, s[28:29]
	v_add_u32_e32 v25, v26, v25
	s_nop 1
	v_mov_b32_dpp v26, v25 row_shr:2 row_mask:0xf bank_mask:0xf
	v_cndmask_b32_e64 v26, 0, v26, s[30:31]
	v_add_u32_e32 v25, v25, v26
	ds_write_b32 v3, v25
.LBB16_16:                              ;   in Loop: Header=BB16_6 Depth=1
	s_or_b64 exec, exec, s[36:37]
	v_mov_b32_e32 v25, 0
	s_waitcnt lgkmcnt(0)
	s_barrier
	s_and_saveexec_b64 s[36:37], s[24:25]
	s_cbranch_execz .LBB16_18
; %bb.17:                               ;   in Loop: Header=BB16_6 Depth=1
	ds_read_b32 v25, v14
.LBB16_18:                              ;   in Loop: Header=BB16_6 Depth=1
	s_or_b64 exec, exec, s[36:37]
	s_waitcnt lgkmcnt(0)
	v_add_u32_e32 v5, v25, v5
	ds_bpermute_b32 v5, v11, v5
	s_cmp_gt_u32 s7, 23
	s_waitcnt lgkmcnt(0)
	v_cndmask_b32_e64 v5, v5, v25, s[26:27]
	v_cndmask_b32_e64 v5, v5, 0, s[4:5]
	v_add_u32_e32 v6, v5, v6
	v_add_u32_e32 v7, v6, v7
	;; [unrolled: 1-line block ×3, first 2 shown]
	ds_write2_b32 v8, v5, v6 offset0:4 offset1:5
	ds_write2_b32 v9, v7, v4 offset0:2 offset1:3
	s_waitcnt lgkmcnt(0)
	s_barrier
	ds_read_b32 v4, v18
	ds_read_b32 v5, v21
	;; [unrolled: 1-line block ×3, first 2 shown]
	s_waitcnt lgkmcnt(2)
	v_add_u32_e32 v7, v4, v19
	s_waitcnt lgkmcnt(1)
	v_add3_u32 v6, v22, v20, v5
	s_waitcnt lgkmcnt(0)
	v_add3_u32 v18, v1, v23, v18
	s_cbranch_scc0 .LBB16_5
; %bb.19:
                                        ; implicit-def: $vgpr1
                                        ; implicit-def: $vgpr5
                                        ; implicit-def: $sgpr7
.LBB16_20:
	v_lshlrev_b32_e32 v0, 2, v7
	s_barrier
	ds_write_b32 v0, v17
	v_lshlrev_b32_e32 v0, 2, v6
	v_mul_u32_u24_e32 v4, 3, v2
	ds_write_b32 v0, v16
	v_lshlrev_b32_e32 v0, 2, v18
	v_lshlrev_b32_e32 v5, 2, v4
	ds_write_b32 v0, v13
	s_waitcnt lgkmcnt(0)
	s_barrier
	ds_read2_b32 v[0:1], v5 offset1:1
	ds_read_b32 v5, v5 offset:8
	s_waitcnt lgkmcnt(0)
	s_barrier
	s_and_saveexec_b64 s[8:9], s[2:3]
	s_cbranch_execz .LBB16_23
; %bb.21:
	v_add_u32_e32 v6, 0x800, v3
	s_mov_b64 s[10:11], 0
	v_mov_b32_e32 v7, 0x300
	s_movk_i32 s7, 0x1ff
	v_mov_b32_e32 v8, v2
.LBB16_22:                              ; =>This Inner Loop Header: Depth=1
	v_add_u32_e32 v8, 0x100, v8
	v_cmp_lt_u32_e32 vcc, s7, v8
	ds_write2st64_b32 v6, v7, v7 offset1:8
	s_or_b64 s[10:11], vcc, s[10:11]
	v_add_u32_e32 v6, 0x400, v6
	s_andn2_b64 exec, exec, s[10:11]
	s_cbranch_execnz .LBB16_22
.LBB16_23:
	s_or_b64 exec, exec, s[8:9]
	v_cmp_ne_u32_e32 vcc, v1, v5
	v_lshlrev_b32_e32 v6, 2, v1
	s_waitcnt lgkmcnt(0)
	s_barrier
	ds_write_b32 v3, v5
	s_and_saveexec_b64 s[8:9], vcc
	s_cbranch_execz .LBB16_25
; %bb.24:
	v_add_u32_e32 v7, 2, v4
	v_lshlrev_b32_e32 v5, 2, v5
	ds_write_b32 v5, v7 offset:2048
	ds_write_b32 v6, v7 offset:4096
.LBB16_25:
	s_or_b64 exec, exec, s[8:9]
	v_cmp_ne_u32_e32 vcc, v0, v1
	v_lshlrev_b32_e32 v1, 2, v0
	s_and_saveexec_b64 s[8:9], vcc
	s_cbranch_execz .LBB16_27
; %bb.26:
	v_add_u32_e32 v5, 1, v4
	ds_write_b32 v6, v5 offset:2048
	ds_write_b32 v1, v5 offset:4096
.LBB16_27:
	s_or_b64 exec, exec, s[8:9]
	s_waitcnt lgkmcnt(0)
	s_barrier
	s_and_saveexec_b64 s[8:9], s[34:35]
	s_cbranch_execz .LBB16_30
; %bb.28:
	v_add_u32_e32 v5, -4, v3
	ds_read_b32 v6, v5
	s_waitcnt lgkmcnt(0)
	v_cmp_ne_u32_e32 vcc, v6, v0
	s_and_b64 exec, exec, vcc
	s_cbranch_execz .LBB16_30
; %bb.29:
	ds_write_b32 v1, v4 offset:2048
	ds_read_b32 v0, v5
	s_waitcnt lgkmcnt(0)
	v_lshlrev_b32_e32 v0, 2, v0
	ds_write_b32 v0, v4 offset:4096
.LBB16_30:
	s_or_b64 exec, exec, s[8:9]
	s_waitcnt lgkmcnt(0)
	s_barrier
	s_and_saveexec_b64 s[8:9], s[4:5]
	s_cbranch_execz .LBB16_32
; %bb.31:
	v_mov_b32_e32 v0, 0
	ds_write_b32 v1, v0 offset:2048
.LBB16_32:
	s_or_b64 exec, exec, s[8:9]
	s_waitcnt lgkmcnt(0)
	s_barrier
	s_and_saveexec_b64 s[4:5], s[2:3]
	s_cbranch_execz .LBB16_34
; %bb.33:
	ds_read2st64_b32 v[0:1], v3 offset0:8 offset1:16
	ds_read_b32 v4, v3 offset:6144
	s_waitcnt lgkmcnt(1)
	v_sub_u32_e32 v0, v1, v0
	s_waitcnt lgkmcnt(0)
	v_add_u32_e32 v0, v0, v4
	ds_write_b32 v3, v0 offset:6144
.LBB16_34:
	s_or_b64 exec, exec, s[4:5]
	s_and_saveexec_b64 s[4:5], s[0:1]
	s_cbranch_execz .LBB16_36
; %bb.35:
	ds_read2st64_b32 v[0:1], v3 offset0:12 offset1:20
	ds_read_b32 v4, v3 offset:7168
	s_waitcnt lgkmcnt(1)
	v_sub_u32_e32 v0, v1, v0
	s_waitcnt lgkmcnt(0)
	v_add_u32_e32 v0, v0, v4
	ds_write_b32 v3, v0 offset:7168
.LBB16_36:
	s_or_b64 exec, exec, s[4:5]
	s_lshl_b32 s6, s6, 9
	v_mov_b32_e32 v0, s6
	s_waitcnt lgkmcnt(0)
	s_barrier
	s_and_saveexec_b64 s[4:5], s[2:3]
	s_cbranch_execnz .LBB16_39
; %bb.37:
	s_or_b64 exec, exec, s[4:5]
	s_and_saveexec_b64 s[2:3], s[0:1]
	s_cbranch_execnz .LBB16_40
.LBB16_38:
	s_endpgm
.LBB16_39:
	ds_read_b32 v5, v3 offset:6144
	v_or_b32_e32 v0, s6, v2
	v_mov_b32_e32 v1, 0
	v_lshlrev_b64 v[0:1], 2, v[0:1]
	v_mov_b32_e32 v4, s39
	v_add_co_u32_e32 v0, vcc, s38, v0
	s_or_b32 s2, s6, 0x100
	v_addc_co_u32_e32 v1, vcc, v4, v1, vcc
	s_waitcnt lgkmcnt(0)
	global_store_dword v[0:1], v5, off
	v_mov_b32_e32 v0, s2
	s_or_b64 exec, exec, s[4:5]
	s_and_saveexec_b64 s[2:3], s[0:1]
	s_cbranch_execz .LBB16_38
.LBB16_40:
	ds_read_b32 v3, v3 offset:7168
	v_add_u32_e32 v0, v0, v2
	v_mov_b32_e32 v1, 0
	v_lshlrev_b64 v[0:1], 2, v[0:1]
	v_mov_b32_e32 v2, s39
	v_add_co_u32_e32 v0, vcc, s38, v0
	v_addc_co_u32_e32 v1, vcc, v2, v1, vcc
	s_waitcnt lgkmcnt(0)
	global_store_dword v[0:1], v3, off
	s_endpgm
	.section	.rodata,"a",@progbits
	.p2align	6, 0x0
	.amdhsa_kernel _Z16histogram_kernelILj256ELj3ELj512ELN6hipcub23BlockHistogramAlgorithmE1EjEvPT3_S3_
		.amdhsa_group_segment_fixed_size 8192
		.amdhsa_private_segment_fixed_size 0
		.amdhsa_kernarg_size 272
		.amdhsa_user_sgpr_count 6
		.amdhsa_user_sgpr_private_segment_buffer 1
		.amdhsa_user_sgpr_dispatch_ptr 0
		.amdhsa_user_sgpr_queue_ptr 0
		.amdhsa_user_sgpr_kernarg_segment_ptr 1
		.amdhsa_user_sgpr_dispatch_id 0
		.amdhsa_user_sgpr_flat_scratch_init 0
		.amdhsa_user_sgpr_kernarg_preload_length 0
		.amdhsa_user_sgpr_kernarg_preload_offset 0
		.amdhsa_user_sgpr_private_segment_size 0
		.amdhsa_uses_dynamic_stack 0
		.amdhsa_system_sgpr_private_segment_wavefront_offset 0
		.amdhsa_system_sgpr_workgroup_id_x 1
		.amdhsa_system_sgpr_workgroup_id_y 0
		.amdhsa_system_sgpr_workgroup_id_z 0
		.amdhsa_system_sgpr_workgroup_info 0
		.amdhsa_system_vgpr_workitem_id 2
		.amdhsa_next_free_vgpr 27
		.amdhsa_next_free_sgpr 42
		.amdhsa_accum_offset 28
		.amdhsa_reserve_vcc 1
		.amdhsa_reserve_flat_scratch 0
		.amdhsa_float_round_mode_32 0
		.amdhsa_float_round_mode_16_64 0
		.amdhsa_float_denorm_mode_32 3
		.amdhsa_float_denorm_mode_16_64 3
		.amdhsa_dx10_clamp 1
		.amdhsa_ieee_mode 1
		.amdhsa_fp16_overflow 0
		.amdhsa_tg_split 0
		.amdhsa_exception_fp_ieee_invalid_op 0
		.amdhsa_exception_fp_denorm_src 0
		.amdhsa_exception_fp_ieee_div_zero 0
		.amdhsa_exception_fp_ieee_overflow 0
		.amdhsa_exception_fp_ieee_underflow 0
		.amdhsa_exception_fp_ieee_inexact 0
		.amdhsa_exception_int_div_zero 0
	.end_amdhsa_kernel
	.section	.text._Z16histogram_kernelILj256ELj3ELj512ELN6hipcub23BlockHistogramAlgorithmE1EjEvPT3_S3_,"axG",@progbits,_Z16histogram_kernelILj256ELj3ELj512ELN6hipcub23BlockHistogramAlgorithmE1EjEvPT3_S3_,comdat
.Lfunc_end16:
	.size	_Z16histogram_kernelILj256ELj3ELj512ELN6hipcub23BlockHistogramAlgorithmE1EjEvPT3_S3_, .Lfunc_end16-_Z16histogram_kernelILj256ELj3ELj512ELN6hipcub23BlockHistogramAlgorithmE1EjEvPT3_S3_
                                        ; -- End function
	.section	.AMDGPU.csdata,"",@progbits
; Kernel info:
; codeLenInByte = 2920
; NumSgprs: 46
; NumVgprs: 27
; NumAgprs: 0
; TotalNumVgprs: 27
; ScratchSize: 0
; MemoryBound: 0
; FloatMode: 240
; IeeeMode: 1
; LDSByteSize: 8192 bytes/workgroup (compile time only)
; SGPRBlocks: 5
; VGPRBlocks: 3
; NumSGPRsForWavesPerEU: 46
; NumVGPRsForWavesPerEU: 27
; AccumOffset: 28
; Occupancy: 8
; WaveLimiterHint : 0
; COMPUTE_PGM_RSRC2:SCRATCH_EN: 0
; COMPUTE_PGM_RSRC2:USER_SGPR: 6
; COMPUTE_PGM_RSRC2:TRAP_HANDLER: 0
; COMPUTE_PGM_RSRC2:TGID_X_EN: 1
; COMPUTE_PGM_RSRC2:TGID_Y_EN: 0
; COMPUTE_PGM_RSRC2:TGID_Z_EN: 0
; COMPUTE_PGM_RSRC2:TIDIG_COMP_CNT: 2
; COMPUTE_PGM_RSRC3_GFX90A:ACCUM_OFFSET: 6
; COMPUTE_PGM_RSRC3_GFX90A:TG_SPLIT: 0
	.section	.text._Z16histogram_kernelILj32ELj2ELj64ELN6hipcub23BlockHistogramAlgorithmE1EjEvPT3_S3_,"axG",@progbits,_Z16histogram_kernelILj32ELj2ELj64ELN6hipcub23BlockHistogramAlgorithmE1EjEvPT3_S3_,comdat
	.protected	_Z16histogram_kernelILj32ELj2ELj64ELN6hipcub23BlockHistogramAlgorithmE1EjEvPT3_S3_ ; -- Begin function _Z16histogram_kernelILj32ELj2ELj64ELN6hipcub23BlockHistogramAlgorithmE1EjEvPT3_S3_
	.globl	_Z16histogram_kernelILj32ELj2ELj64ELN6hipcub23BlockHistogramAlgorithmE1EjEvPT3_S3_
	.p2align	8
	.type	_Z16histogram_kernelILj32ELj2ELj64ELN6hipcub23BlockHistogramAlgorithmE1EjEvPT3_S3_,@function
_Z16histogram_kernelILj32ELj2ELj64ELN6hipcub23BlockHistogramAlgorithmE1EjEvPT3_S3_: ; @_Z16histogram_kernelILj32ELj2ELj64ELN6hipcub23BlockHistogramAlgorithmE1EjEvPT3_S3_
; %bb.0:
	s_load_dwordx4 s[20:23], s[4:5], 0x0
	s_lshl_b32 s30, s6, 6
	v_lshlrev_b32_e32 v13, 1, v0
	v_or_b32_e32 v2, s30, v13
	v_mov_b32_e32 v3, 0
	v_lshlrev_b64 v[4:5], 2, v[2:3]
	s_waitcnt lgkmcnt(0)
	v_mov_b32_e32 v1, s21
	v_add_co_u32_e32 v4, vcc, s20, v4
	v_addc_co_u32_e32 v5, vcc, v1, v5, vcc
	global_load_dwordx2 v[4:5], v[4:5], off
	v_cmp_gt_u32_e64 s[2:3], 64, v0
	v_lshlrev_b32_e32 v12, 2, v0
	s_and_saveexec_b64 s[0:1], s[2:3]
	s_cbranch_execz .LBB17_2
; %bb.1:
	ds_write_b32 v12, v3 offset:1040
.LBB17_2:
	s_or_b64 exec, exec, s[0:1]
	v_cmp_gt_u32_e64 s[0:1], 32, v0
	s_and_saveexec_b64 s[4:5], s[0:1]
	s_cbranch_execz .LBB17_4
; %bb.3:
	v_mov_b32_e32 v1, 0
	ds_write_b32 v12, v1 offset:1168
.LBB17_4:
	s_or_b64 exec, exec, s[4:5]
	v_mbcnt_lo_u32_b32 v1, -1, 0
	v_mbcnt_hi_u32_b32 v1, -1, v1
	v_and_b32_e32 v2, 15, v1
	v_cmp_eq_u32_e64 s[6:7], 0, v2
	v_cmp_lt_u32_e64 s[8:9], 1, v2
	v_cmp_lt_u32_e64 s[10:11], 3, v2
	;; [unrolled: 1-line block ×3, first 2 shown]
	v_and_b32_e32 v2, 16, v1
	v_cmp_eq_u32_e64 s[14:15], 0, v2
	v_add_u32_e32 v2, -1, v1
	v_and_b32_e32 v3, 0x60, v1
	v_cmp_lt_i32_e32 vcc, v2, v3
	s_movk_i32 s4, 0x100
	v_cndmask_b32_e32 v2, v2, v1, vcc
	v_cmp_gt_u32_e64 s[4:5], s4, v0
	v_lshlrev_b32_e32 v14, 5, v0
	s_mov_b32 s31, 0
	v_cmp_eq_u32_e64 s[16:17], 31, v0
	v_lshlrev_b32_e32 v16, 2, v2
	v_cmp_eq_u32_e64 s[18:19], 0, v1
	v_lshlrev_b32_e32 v15, 2, v13
	v_or_b32_e32 v1, 32, v0
	v_mov_b32_e32 v17, 0
	s_movk_i32 s33, 0xe0
	s_waitcnt lgkmcnt(0)
	; wave barrier
	s_waitcnt lgkmcnt(0)
	s_branch .LBB17_6
.LBB17_5:                               ;   in Loop: Header=BB17_6 Depth=1
	v_lshlrev_b32_e32 v4, 2, v6
	s_waitcnt lgkmcnt(0)
	; wave barrier
	ds_write_b32 v4, v2
	v_lshlrev_b32_e32 v4, 2, v7
	ds_write_b32 v4, v3
	s_waitcnt lgkmcnt(0)
	; wave barrier
	s_waitcnt lgkmcnt(0)
	ds_read2_b32 v[4:5], v15 offset1:1
	s_add_i32 s31, s31, 4
	s_waitcnt lgkmcnt(0)
	; wave barrier
	s_waitcnt lgkmcnt(0)
	s_cbranch_execz .LBB17_17
.LBB17_6:                               ; =>This Loop Header: Depth=1
                                        ;     Child Loop BB17_9 Depth 2
	s_waitcnt vmcnt(0)
	v_pk_mov_b32 v[2:3], v[4:5], v[4:5] op_sel:[0,1]
	s_and_saveexec_b64 s[20:21], s[4:5]
	s_cbranch_execz .LBB17_13
; %bb.7:                                ;   in Loop: Header=BB17_6 Depth=1
	s_mov_b32 s34, 0
	s_mov_b64 s[24:25], 0
	v_pk_mov_b32 v[4:5], v[0:1], v[0:1] op_sel:[0,1]
	s_branch .LBB17_9
.LBB17_8:                               ;   in Loop: Header=BB17_9 Depth=2
	s_or_b64 exec, exec, s[28:29]
	s_add_i32 s34, s34, 2
	v_cmp_eq_u32_e64 s[26:27], 8, s34
	v_add_u32_e32 v5, 64, v5
	s_or_b64 s[24:25], s[26:27], s[24:25]
	v_add_u32_e32 v4, 64, v4
	s_andn2_b64 exec, exec, s[24:25]
	s_cbranch_execz .LBB17_13
.LBB17_9:                               ;   Parent Loop BB17_6 Depth=1
                                        ; =>  This Inner Loop Header: Depth=2
	s_or_b32 s26, s34, 1
	v_cmp_le_u32_e64 s[26:27], s26, 7
	v_cmp_le_u32_e64 s[36:37], s34, 7
	s_and_saveexec_b64 s[28:29], s[36:37]
	s_cbranch_execz .LBB17_11
; %bb.10:                               ;   in Loop: Header=BB17_9 Depth=2
	v_lshlrev_b32_e32 v6, 2, v4
	ds_write_b32 v6, v17
.LBB17_11:                              ;   in Loop: Header=BB17_9 Depth=2
	s_or_b64 exec, exec, s[28:29]
	s_and_saveexec_b64 s[28:29], s[26:27]
	s_cbranch_execz .LBB17_8
; %bb.12:                               ;   in Loop: Header=BB17_9 Depth=2
	v_lshlrev_b32_e32 v6, 2, v5
	ds_write_b32 v6, v17
	s_branch .LBB17_8
.LBB17_13:                              ;   in Loop: Header=BB17_6 Depth=1
	s_or_b64 exec, exec, s[20:21]
	v_lshrrev_b32_e32 v4, s31, v2
	v_and_b32_e32 v5, 8, v4
	v_lshlrev_b32_e32 v4, 5, v4
	v_and_or_b32 v4, v4, s33, v0
	v_lshrrev_b32_e32 v5, 2, v5
	v_lshl_or_b32 v19, v4, 2, v5
	ds_read_u16 v18, v19
	v_lshrrev_b32_e32 v4, s31, v3
	v_and_b32_e32 v5, 8, v4
	v_lshlrev_b32_e32 v4, 5, v4
	v_and_or_b32 v4, v4, s33, v0
	s_waitcnt lgkmcnt(0)
	v_add_u16_e32 v6, 1, v18
	v_lshrrev_b32_e32 v5, 2, v5
	ds_write_b16 v19, v6
	v_lshl_or_b32 v21, v4, 2, v5
	ds_read_u16 v20, v21
	s_waitcnt lgkmcnt(0)
	v_add_u16_e32 v4, 1, v20
	ds_write_b16 v21, v4
	s_waitcnt lgkmcnt(0)
	; wave barrier
	s_waitcnt lgkmcnt(0)
	ds_read2_b32 v[10:11], v14 offset1:1
	ds_read2_b32 v[8:9], v14 offset0:2 offset1:3
	ds_read2_b32 v[4:5], v14 offset0:4 offset1:5
	ds_read2_b32 v[6:7], v14 offset0:6 offset1:7
	s_waitcnt lgkmcnt(3)
	v_add_u32_e32 v22, v11, v10
	s_waitcnt lgkmcnt(2)
	v_add3_u32 v22, v22, v8, v9
	s_waitcnt lgkmcnt(1)
	v_add3_u32 v22, v22, v4, v5
	;; [unrolled: 2-line block ×3, first 2 shown]
	s_nop 1
	v_mov_b32_dpp v22, v7 row_shr:1 row_mask:0xf bank_mask:0xf
	v_cndmask_b32_e64 v22, v22, 0, s[6:7]
	v_add_u32_e32 v7, v22, v7
	s_nop 1
	v_mov_b32_dpp v22, v7 row_shr:2 row_mask:0xf bank_mask:0xf
	v_cndmask_b32_e64 v22, 0, v22, s[8:9]
	v_add_u32_e32 v7, v7, v22
	;; [unrolled: 4-line block ×4, first 2 shown]
	s_nop 1
	v_mov_b32_dpp v22, v7 row_bcast:15 row_mask:0xf bank_mask:0xf
	v_cndmask_b32_e64 v22, v22, 0, s[14:15]
	v_add_u32_e32 v7, v7, v22
	s_and_saveexec_b64 s[20:21], s[16:17]
	s_cbranch_execz .LBB17_15
; %bb.14:                               ;   in Loop: Header=BB17_6 Depth=1
	ds_write_b32 v17, v7 offset:1024
.LBB17_15:                              ;   in Loop: Header=BB17_6 Depth=1
	s_or_b64 exec, exec, s[20:21]
	ds_bpermute_b32 v7, v16, v7
	s_waitcnt lgkmcnt(0)
	; wave barrier
	s_waitcnt lgkmcnt(0)
	ds_read_b32 v22, v17 offset:1024
	s_cmp_gt_u32 s31, 27
	v_cndmask_b32_e64 v7, v7, 0, s[18:19]
	s_waitcnt lgkmcnt(0)
	v_lshl_add_u32 v7, v22, 16, v7
	v_add_u32_e32 v10, v7, v10
	v_add_u32_e32 v11, v10, v11
	ds_write2_b32 v14, v7, v10 offset1:1
	v_add_u32_e32 v7, v11, v8
	v_add_u32_e32 v8, v7, v9
	;; [unrolled: 1-line block ×5, first 2 shown]
	ds_write2_b32 v14, v11, v7 offset0:2 offset1:3
	ds_write2_b32 v14, v8, v4 offset0:4 offset1:5
	;; [unrolled: 1-line block ×3, first 2 shown]
	s_waitcnt lgkmcnt(0)
	; wave barrier
	s_waitcnt lgkmcnt(0)
	ds_read_u16 v4, v19
	ds_read_u16 v5, v21
	s_waitcnt lgkmcnt(1)
	v_add_u32_sdwa v6, v4, v18 dst_sel:DWORD dst_unused:UNUSED_PAD src0_sel:DWORD src1_sel:WORD_0
	s_waitcnt lgkmcnt(0)
	v_add_u32_sdwa v7, v5, v20 dst_sel:DWORD dst_unused:UNUSED_PAD src0_sel:DWORD src1_sel:WORD_0
	s_cbranch_scc0 .LBB17_5
; %bb.16:
                                        ; implicit-def: $sgpr31
                                        ; implicit-def: $vgpr4_vgpr5
.LBB17_17:
	v_lshlrev_b32_e32 v1, 2, v6
	s_waitcnt lgkmcnt(0)
	; wave barrier
	ds_write_b32 v1, v2
	v_lshlrev_b32_e32 v1, 2, v7
	ds_write_b32 v1, v3
	s_waitcnt lgkmcnt(0)
	; wave barrier
	s_waitcnt lgkmcnt(0)
	ds_read2_b32 v[2:3], v15 offset1:1
	s_waitcnt lgkmcnt(0)
	; wave barrier
	s_waitcnt lgkmcnt(0)
	s_and_saveexec_b64 s[4:5], s[2:3]
	s_cbranch_execz .LBB17_20
; %bb.18:
	v_mov_b32_e32 v1, 0x100
	v_lshl_or_b32 v1, v0, 2, v1
	s_mov_b64 s[6:7], 0
	v_mov_b32_e32 v4, 64
	v_mov_b32_e32 v5, v0
.LBB17_19:                              ; =>This Inner Loop Header: Depth=1
	v_add_u32_e32 v5, 32, v5
	v_cmp_lt_u32_e32 vcc, 63, v5
	ds_write2st64_b32 v1, v4, v4 offset1:1
	s_or_b64 s[6:7], vcc, s[6:7]
	v_add_u32_e32 v1, 0x80, v1
	s_andn2_b64 exec, exec, s[6:7]
	s_cbranch_execnz .LBB17_19
.LBB17_20:
	s_or_b64 exec, exec, s[4:5]
	v_cmp_ne_u32_e32 vcc, v2, v3
	v_lshlrev_b32_e32 v1, 2, v2
	s_waitcnt lgkmcnt(0)
	; wave barrier
	s_waitcnt lgkmcnt(0)
	ds_write_b32 v12, v3
	s_and_saveexec_b64 s[4:5], vcc
	s_cbranch_execz .LBB17_22
; %bb.21:
	v_or_b32_e32 v4, 1, v13
	v_lshlrev_b32_e32 v3, 2, v3
	ds_write_b32 v3, v4 offset:256
	ds_write_b32 v1, v4 offset:512
.LBB17_22:
	s_or_b64 exec, exec, s[4:5]
	v_cmp_eq_u32_e32 vcc, 0, v0
	v_cmp_ne_u32_e64 s[4:5], 0, v0
	s_waitcnt lgkmcnt(0)
	; wave barrier
	s_waitcnt lgkmcnt(0)
	s_and_saveexec_b64 s[6:7], s[4:5]
	s_cbranch_execz .LBB17_25
; %bb.23:
	v_add_u32_e32 v3, -4, v12
	ds_read_b32 v4, v3
	s_waitcnt lgkmcnt(0)
	v_cmp_ne_u32_e64 s[4:5], v4, v2
	s_and_b64 exec, exec, s[4:5]
	s_cbranch_execz .LBB17_25
; %bb.24:
	ds_write_b32 v1, v13 offset:256
	ds_read_b32 v2, v3
	s_waitcnt lgkmcnt(0)
	v_lshlrev_b32_e32 v2, 2, v2
	ds_write_b32 v2, v13 offset:512
.LBB17_25:
	s_or_b64 exec, exec, s[6:7]
	s_waitcnt lgkmcnt(0)
	; wave barrier
	s_waitcnt lgkmcnt(0)
	s_and_saveexec_b64 s[4:5], vcc
	s_cbranch_execz .LBB17_27
; %bb.26:
	v_mov_b32_e32 v2, 0
	ds_write_b32 v1, v2 offset:256
.LBB17_27:
	s_or_b64 exec, exec, s[4:5]
	s_waitcnt lgkmcnt(0)
	; wave barrier
	s_waitcnt lgkmcnt(0)
	s_and_saveexec_b64 s[4:5], s[2:3]
	s_cbranch_execz .LBB17_29
; %bb.28:
	ds_read2st64_b32 v[2:3], v12 offset0:1 offset1:2
	ds_read_b32 v1, v12 offset:1040
	s_waitcnt lgkmcnt(1)
	v_sub_u32_e32 v2, v3, v2
	s_waitcnt lgkmcnt(0)
	v_add_u32_e32 v1, v2, v1
	ds_write_b32 v12, v1 offset:1040
.LBB17_29:
	s_or_b64 exec, exec, s[4:5]
	s_and_saveexec_b64 s[4:5], s[0:1]
	s_cbranch_execz .LBB17_31
; %bb.30:
	ds_read2_b32 v[2:3], v12 offset0:96 offset1:160
	ds_read_b32 v1, v12 offset:1168
	s_waitcnt lgkmcnt(1)
	v_sub_u32_e32 v2, v3, v2
	s_waitcnt lgkmcnt(0)
	v_add_u32_e32 v1, v2, v1
	ds_write_b32 v12, v1 offset:1168
.LBB17_31:
	s_or_b64 exec, exec, s[4:5]
	v_mov_b32_e32 v1, s30
	s_waitcnt lgkmcnt(0)
	; wave barrier
	s_waitcnt lgkmcnt(0)
	s_and_saveexec_b64 s[4:5], s[2:3]
	s_cbranch_execnz .LBB17_34
; %bb.32:
	s_or_b64 exec, exec, s[4:5]
	s_and_saveexec_b64 s[2:3], s[0:1]
	s_cbranch_execnz .LBB17_35
.LBB17_33:
	s_endpgm
.LBB17_34:
	ds_read_b32 v4, v12 offset:1040
	v_or_b32_e32 v2, s30, v0
	v_mov_b32_e32 v3, 0
	v_lshlrev_b64 v[2:3], 2, v[2:3]
	s_or_b32 s2, s30, 32
	v_mov_b32_e32 v1, s23
	v_add_co_u32_e32 v2, vcc, s22, v2
	v_addc_co_u32_e32 v3, vcc, v1, v3, vcc
	v_mov_b32_e32 v1, s2
	s_waitcnt lgkmcnt(0)
	global_store_dword v[2:3], v4, off
	s_or_b64 exec, exec, s[4:5]
	s_and_saveexec_b64 s[2:3], s[0:1]
	s_cbranch_execz .LBB17_33
.LBB17_35:
	ds_read_b32 v3, v12 offset:1168
	v_add_u32_e32 v0, v1, v0
	v_mov_b32_e32 v1, 0
	v_lshlrev_b64 v[0:1], 2, v[0:1]
	v_mov_b32_e32 v2, s23
	v_add_co_u32_e32 v0, vcc, s22, v0
	v_addc_co_u32_e32 v1, vcc, v2, v1, vcc
	s_waitcnt lgkmcnt(0)
	global_store_dword v[0:1], v3, off
	s_endpgm
	.section	.rodata,"a",@progbits
	.p2align	6, 0x0
	.amdhsa_kernel _Z16histogram_kernelILj32ELj2ELj64ELN6hipcub23BlockHistogramAlgorithmE1EjEvPT3_S3_
		.amdhsa_group_segment_fixed_size 1296
		.amdhsa_private_segment_fixed_size 0
		.amdhsa_kernarg_size 16
		.amdhsa_user_sgpr_count 6
		.amdhsa_user_sgpr_private_segment_buffer 1
		.amdhsa_user_sgpr_dispatch_ptr 0
		.amdhsa_user_sgpr_queue_ptr 0
		.amdhsa_user_sgpr_kernarg_segment_ptr 1
		.amdhsa_user_sgpr_dispatch_id 0
		.amdhsa_user_sgpr_flat_scratch_init 0
		.amdhsa_user_sgpr_kernarg_preload_length 0
		.amdhsa_user_sgpr_kernarg_preload_offset 0
		.amdhsa_user_sgpr_private_segment_size 0
		.amdhsa_uses_dynamic_stack 0
		.amdhsa_system_sgpr_private_segment_wavefront_offset 0
		.amdhsa_system_sgpr_workgroup_id_x 1
		.amdhsa_system_sgpr_workgroup_id_y 0
		.amdhsa_system_sgpr_workgroup_id_z 0
		.amdhsa_system_sgpr_workgroup_info 0
		.amdhsa_system_vgpr_workitem_id 0
		.amdhsa_next_free_vgpr 23
		.amdhsa_next_free_sgpr 38
		.amdhsa_accum_offset 24
		.amdhsa_reserve_vcc 1
		.amdhsa_reserve_flat_scratch 0
		.amdhsa_float_round_mode_32 0
		.amdhsa_float_round_mode_16_64 0
		.amdhsa_float_denorm_mode_32 3
		.amdhsa_float_denorm_mode_16_64 3
		.amdhsa_dx10_clamp 1
		.amdhsa_ieee_mode 1
		.amdhsa_fp16_overflow 0
		.amdhsa_tg_split 0
		.amdhsa_exception_fp_ieee_invalid_op 0
		.amdhsa_exception_fp_denorm_src 0
		.amdhsa_exception_fp_ieee_div_zero 0
		.amdhsa_exception_fp_ieee_overflow 0
		.amdhsa_exception_fp_ieee_underflow 0
		.amdhsa_exception_fp_ieee_inexact 0
		.amdhsa_exception_int_div_zero 0
	.end_amdhsa_kernel
	.section	.text._Z16histogram_kernelILj32ELj2ELj64ELN6hipcub23BlockHistogramAlgorithmE1EjEvPT3_S3_,"axG",@progbits,_Z16histogram_kernelILj32ELj2ELj64ELN6hipcub23BlockHistogramAlgorithmE1EjEvPT3_S3_,comdat
.Lfunc_end17:
	.size	_Z16histogram_kernelILj32ELj2ELj64ELN6hipcub23BlockHistogramAlgorithmE1EjEvPT3_S3_, .Lfunc_end17-_Z16histogram_kernelILj32ELj2ELj64ELN6hipcub23BlockHistogramAlgorithmE1EjEvPT3_S3_
                                        ; -- End function
	.section	.AMDGPU.csdata,"",@progbits
; Kernel info:
; codeLenInByte = 1560
; NumSgprs: 42
; NumVgprs: 23
; NumAgprs: 0
; TotalNumVgprs: 23
; ScratchSize: 0
; MemoryBound: 0
; FloatMode: 240
; IeeeMode: 1
; LDSByteSize: 1296 bytes/workgroup (compile time only)
; SGPRBlocks: 5
; VGPRBlocks: 2
; NumSGPRsForWavesPerEU: 42
; NumVGPRsForWavesPerEU: 23
; AccumOffset: 24
; Occupancy: 8
; WaveLimiterHint : 0
; COMPUTE_PGM_RSRC2:SCRATCH_EN: 0
; COMPUTE_PGM_RSRC2:USER_SGPR: 6
; COMPUTE_PGM_RSRC2:TRAP_HANDLER: 0
; COMPUTE_PGM_RSRC2:TGID_X_EN: 1
; COMPUTE_PGM_RSRC2:TGID_Y_EN: 0
; COMPUTE_PGM_RSRC2:TGID_Z_EN: 0
; COMPUTE_PGM_RSRC2:TIDIG_COMP_CNT: 0
; COMPUTE_PGM_RSRC3_GFX90A:ACCUM_OFFSET: 5
; COMPUTE_PGM_RSRC3_GFX90A:TG_SPLIT: 0
	.section	.text._Z16histogram_kernelILj6ELj32ELj18ELN6hipcub23BlockHistogramAlgorithmE1EjEvPT3_S3_,"axG",@progbits,_Z16histogram_kernelILj6ELj32ELj18ELN6hipcub23BlockHistogramAlgorithmE1EjEvPT3_S3_,comdat
	.protected	_Z16histogram_kernelILj6ELj32ELj18ELN6hipcub23BlockHistogramAlgorithmE1EjEvPT3_S3_ ; -- Begin function _Z16histogram_kernelILj6ELj32ELj18ELN6hipcub23BlockHistogramAlgorithmE1EjEvPT3_S3_
	.globl	_Z16histogram_kernelILj6ELj32ELj18ELN6hipcub23BlockHistogramAlgorithmE1EjEvPT3_S3_
	.p2align	8
	.type	_Z16histogram_kernelILj6ELj32ELj18ELN6hipcub23BlockHistogramAlgorithmE1EjEvPT3_S3_,@function
_Z16histogram_kernelILj6ELj32ELj18ELN6hipcub23BlockHistogramAlgorithmE1EjEvPT3_S3_: ; @_Z16histogram_kernelILj6ELj32ELj18ELN6hipcub23BlockHistogramAlgorithmE1EjEvPT3_S3_
; %bb.0:
	s_load_dwordx4 s[20:23], s[4:5], 0x0
	s_mul_i32 s0, s6, 6
	v_add_lshl_u32 v34, s0, v0, 5
	v_mov_b32_e32 v35, 0
	v_lshlrev_b64 v[2:3], 2, v[34:35]
	s_waitcnt lgkmcnt(0)
	v_mov_b32_e32 v1, s21
	v_add_co_u32_e32 v36, vcc, s20, v2
	v_addc_co_u32_e32 v37, vcc, v1, v3, vcc
	global_load_dwordx4 v[14:17], v[36:37], off offset:48
	global_load_dwordx4 v[10:13], v[36:37], off offset:32
	;; [unrolled: 1-line block ×3, first 2 shown]
	global_load_dwordx4 v[2:5], v[36:37], off
	global_load_dwordx4 v[30:33], v[36:37], off offset:112
	global_load_dwordx4 v[26:29], v[36:37], off offset:96
	;; [unrolled: 1-line block ×4, first 2 shown]
	v_cmp_gt_u32_e64 s[4:5], 18, v0
	v_lshlrev_b32_e32 v68, 2, v0
	s_and_saveexec_b64 s[0:1], s[4:5]
	s_cbranch_execnz .LBB18_95
; %bb.1:
	s_or_b64 exec, exec, s[0:1]
	v_cmp_gt_u32_e64 s[2:3], 12, v0
	s_and_saveexec_b64 s[0:1], s[2:3]
	s_cbranch_execnz .LBB18_96
.LBB18_2:
	s_or_b64 exec, exec, s[0:1]
	v_cmp_gt_u32_e64 s[0:1], 6, v0
	s_and_saveexec_b64 s[8:9], s[0:1]
	s_cbranch_execz .LBB18_4
.LBB18_3:
	v_mov_b32_e32 v1, 0
	ds_write_b32 v68, v1 offset:816
.LBB18_4:
	s_or_b64 exec, exec, s[8:9]
	v_mbcnt_lo_u32_b32 v1, -1, 0
	v_mbcnt_hi_u32_b32 v1, -1, v1
	v_and_b32_e32 v34, 7, v1
	v_cmp_eq_u32_e64 s[8:9], 0, v34
	v_cmp_lt_u32_e64 s[10:11], 1, v34
	v_cmp_lt_u32_e64 s[12:13], 3, v34
	v_add_u32_e32 v34, -1, v1
	v_and_b32_e32 v35, 0x78, v1
	v_cmp_lt_i32_e32 vcc, v34, v35
	v_cndmask_b32_e32 v34, v34, v1, vcc
	v_cmp_gt_u32_e32 vcc, 42, v0
	v_cmp_eq_u32_e64 s[16:17], 0, v1
	v_subb_co_u32_e64 v1, s[20:21], 42, v0, vcc
	s_mov_b32 s20, 0x2aaaaaab
	v_mul_hi_u32 v1, v1, s20
	v_addc_co_u32_e32 v52, vcc, 0, v1, vcc
	v_lshlrev_b32_e32 v71, 2, v34
	v_and_b32_e32 v34, 14, v52
	v_cmp_gt_u32_e64 s[18:19], 48, v0
	v_lshlrev_b32_e32 v69, 5, v0
	s_mov_b32 s7, 0
	v_cmp_eq_u32_e64 s[14:15], 5, v0
	v_lshlrev_b32_e32 v70, 7, v0
	v_add_u32_e32 v1, 6, v0
	v_mov_b32_e32 v53, v52
	v_add_u32_e32 v72, 2, v34
	v_mov_b32_e32 v73, 0
	s_waitcnt lgkmcnt(0)
	; wave barrier
	s_waitcnt lgkmcnt(0)
	s_branch .LBB18_6
.LBB18_5:                               ;   in Loop: Header=BB18_6 Depth=1
	v_lshlrev_b32_e32 v2, 2, v93
	s_waitcnt lgkmcnt(0)
	; wave barrier
	ds_write_b32 v2, v66
	v_lshlrev_b32_e32 v2, 2, v92
	ds_write_b32 v2, v67
	v_lshlrev_b32_e32 v2, 2, v90
	;; [unrolled: 2-line block ×31, first 2 shown]
	ds_write_b32 v2, v35
	s_waitcnt lgkmcnt(0)
	; wave barrier
	s_waitcnt lgkmcnt(0)
	ds_read2_b32 v[2:3], v70 offset1:1
	ds_read2_b32 v[4:5], v70 offset0:2 offset1:3
	ds_read2_b32 v[6:7], v70 offset0:4 offset1:5
	;; [unrolled: 1-line block ×15, first 2 shown]
	s_add_i32 s7, s7, 4
	s_waitcnt lgkmcnt(0)
	; wave barrier
	s_waitcnt lgkmcnt(0)
	s_cbranch_execz .LBB18_17
.LBB18_6:                               ; =>This Loop Header: Depth=1
                                        ;     Child Loop BB18_9 Depth 2
	s_waitcnt vmcnt(4)
	v_pk_mov_b32 v[66:67], v[2:3], v[2:3] op_sel:[0,1]
	v_pk_mov_b32 v[64:65], v[4:5], v[4:5] op_sel:[0,1]
	v_pk_mov_b32 v[62:63], v[6:7], v[6:7] op_sel:[0,1]
	v_pk_mov_b32 v[60:61], v[8:9], v[8:9] op_sel:[0,1]
	v_pk_mov_b32 v[58:59], v[10:11], v[10:11] op_sel:[0,1]
	v_pk_mov_b32 v[56:57], v[12:13], v[12:13] op_sel:[0,1]
	v_pk_mov_b32 v[54:55], v[14:15], v[14:15] op_sel:[0,1]
	v_pk_mov_b32 v[50:51], v[16:17], v[16:17] op_sel:[0,1]
	s_waitcnt vmcnt(0)
	v_pk_mov_b32 v[48:49], v[18:19], v[18:19] op_sel:[0,1]
	v_pk_mov_b32 v[46:47], v[20:21], v[20:21] op_sel:[0,1]
	;; [unrolled: 1-line block ×8, first 2 shown]
	s_and_saveexec_b64 s[24:25], s[18:19]
	s_cbranch_execz .LBB18_13
; %bb.7:                                ;   in Loop: Header=BB18_6 Depth=1
	s_mov_b32 s30, 0
	s_mov_b64 s[26:27], 0
	v_pk_mov_b32 v[2:3], v[0:1], v[0:1] op_sel:[0,1]
	s_branch .LBB18_9
.LBB18_8:                               ;   in Loop: Header=BB18_9 Depth=2
	s_or_b64 exec, exec, s[20:21]
	s_add_i32 s30, s30, 2
	v_cmp_eq_u32_e32 vcc, s30, v72
	v_add_u32_e32 v3, 12, v3
	s_or_b64 s[26:27], vcc, s[26:27]
	v_add_u32_e32 v2, 12, v2
	s_andn2_b64 exec, exec, s[26:27]
	s_cbranch_execz .LBB18_13
.LBB18_9:                               ;   Parent Loop BB18_6 Depth=1
                                        ; =>  This Inner Loop Header: Depth=2
	s_or_b32 s20, s30, 1
	v_cmp_le_u32_e32 vcc, s20, v53
	v_cmp_le_u32_e64 s[20:21], s30, v52
	s_and_saveexec_b64 s[28:29], s[20:21]
	s_cbranch_execz .LBB18_11
; %bb.10:                               ;   in Loop: Header=BB18_9 Depth=2
	v_lshlrev_b32_e32 v4, 2, v2
	ds_write_b32 v4, v73
.LBB18_11:                              ;   in Loop: Header=BB18_9 Depth=2
	s_or_b64 exec, exec, s[28:29]
	s_and_saveexec_b64 s[20:21], vcc
	s_cbranch_execz .LBB18_8
; %bb.12:                               ;   in Loop: Header=BB18_9 Depth=2
	v_lshlrev_b32_e32 v4, 2, v3
	ds_write_b32 v4, v73
	s_branch .LBB18_8
.LBB18_13:                              ;   in Loop: Header=BB18_6 Depth=1
	s_or_b64 exec, exec, s[24:25]
	v_lshrrev_b32_e32 v2, s7, v66
	v_bfe_u32 v3, v66, s7, 3
	v_lshrrev_b32_e32 v2, 2, v2
	v_mad_u32_u24 v3, v3, 6, v0
	v_and_b32_e32 v2, 2, v2
	v_lshl_or_b32 v12, v3, 2, v2
	ds_read_u16 v10, v12
	v_lshrrev_b32_e32 v2, s7, v67
	v_bfe_u32 v3, v67, s7, 3
	v_lshrrev_b32_e32 v2, 2, v2
	v_mad_u32_u24 v3, v3, 6, v0
	s_waitcnt lgkmcnt(0)
	v_add_u16_e32 v4, 1, v10
	v_and_b32_e32 v2, 2, v2
	ds_write_b16 v12, v4
	v_lshl_or_b32 v14, v3, 2, v2
	ds_read_u16 v11, v14
	v_bfe_u32 v3, v64, s7, 3
	v_mad_u32_u24 v3, v3, 6, v0
	s_waitcnt lgkmcnt(0)
	v_add_u16_e32 v2, 1, v11
	ds_write_b16 v14, v2
	v_lshrrev_b32_e32 v2, s7, v64
	v_lshrrev_b32_e32 v2, 2, v2
	v_and_b32_e32 v2, 2, v2
	v_lshl_or_b32 v16, v3, 2, v2
	ds_read_u16 v13, v16
	v_bfe_u32 v3, v65, s7, 3
	v_mad_u32_u24 v3, v3, 6, v0
	s_waitcnt lgkmcnt(0)
	v_add_u16_e32 v2, 1, v13
	ds_write_b16 v16, v2
	v_lshrrev_b32_e32 v2, s7, v65
	v_lshrrev_b32_e32 v2, 2, v2
	v_and_b32_e32 v2, 2, v2
	;; [unrolled: 10-line block ×10, first 2 shown]
	v_lshl_or_b32 v74, v3, 2, v2
	ds_read_u16 v31, v74
	v_lshrrev_b32_e32 v3, s7, v54
	v_lshrrev_b32_e32 v3, 2, v3
	v_and_b32_e32 v3, 2, v3
	s_waitcnt lgkmcnt(0)
	v_add_u16_e32 v2, 1, v31
	ds_write_b16 v74, v2
	v_bfe_u32 v2, v54, s7, 3
	v_mad_u32_u24 v2, v2, 6, v0
	v_lshl_or_b32 v76, v2, 2, v3
	ds_read_u16 v33, v76
	v_lshrrev_b32_e32 v3, s7, v55
	v_lshrrev_b32_e32 v3, 2, v3
	v_and_b32_e32 v3, 2, v3
	s_waitcnt lgkmcnt(0)
	v_add_u16_e32 v2, 1, v33
	ds_write_b16 v76, v2
	v_bfe_u32 v2, v55, s7, 3
	v_mad_u32_u24 v2, v2, 6, v0
	;; [unrolled: 10-line block ×20, first 2 shown]
	v_lshl_or_b32 v123, v2, 2, v3
	ds_read_u16 v121, v123
	s_waitcnt lgkmcnt(0)
	v_add_u16_e32 v2, 1, v121
	ds_write_b16 v123, v2
	s_waitcnt lgkmcnt(0)
	; wave barrier
	s_waitcnt lgkmcnt(0)
	ds_read2_b32 v[8:9], v69 offset1:1
	ds_read2_b32 v[2:3], v69 offset0:2 offset1:3
	ds_read2_b32 v[4:5], v69 offset0:4 offset1:5
	;; [unrolled: 1-line block ×3, first 2 shown]
	s_waitcnt lgkmcnt(3)
	v_add_u32_e32 v83, v9, v8
	s_waitcnt lgkmcnt(2)
	v_add3_u32 v83, v83, v2, v3
	s_waitcnt lgkmcnt(1)
	v_add3_u32 v83, v83, v4, v5
	;; [unrolled: 2-line block ×3, first 2 shown]
	s_nop 1
	v_mov_b32_dpp v83, v7 row_shr:1 row_mask:0xf bank_mask:0xf
	v_cndmask_b32_e64 v83, v83, 0, s[8:9]
	v_add_u32_e32 v7, v83, v7
	s_nop 1
	v_mov_b32_dpp v83, v7 row_shr:2 row_mask:0xf bank_mask:0xf
	v_cndmask_b32_e64 v83, 0, v83, s[10:11]
	v_add_u32_e32 v7, v7, v83
	;; [unrolled: 4-line block ×3, first 2 shown]
	s_and_saveexec_b64 s[20:21], s[14:15]
	s_cbranch_execz .LBB18_15
; %bb.14:                               ;   in Loop: Header=BB18_6 Depth=1
	ds_write_b32 v73, v7 offset:192
.LBB18_15:                              ;   in Loop: Header=BB18_6 Depth=1
	s_or_b64 exec, exec, s[20:21]
	ds_bpermute_b32 v7, v71, v7
	s_waitcnt lgkmcnt(0)
	; wave barrier
	s_waitcnt lgkmcnt(0)
	ds_read_b32 v83, v73 offset:192
	s_cmp_gt_u32 s7, 27
	v_cndmask_b32_e64 v7, v7, 0, s[16:17]
	s_waitcnt lgkmcnt(0)
	v_lshl_add_u32 v7, v83, 16, v7
	v_add_u32_e32 v8, v7, v8
	v_add_u32_e32 v9, v8, v9
	;; [unrolled: 1-line block ×7, first 2 shown]
	ds_write2_b32 v69, v7, v8 offset1:1
	ds_write2_b32 v69, v9, v2 offset0:2 offset1:3
	ds_write2_b32 v69, v3, v4 offset0:4 offset1:5
	;; [unrolled: 1-line block ×3, first 2 shown]
	s_waitcnt lgkmcnt(0)
	; wave barrier
	s_waitcnt lgkmcnt(0)
	ds_read_u16 v2, v12
	ds_read_u16 v3, v14
	ds_read_u16 v4, v16
	ds_read_u16 v5, v18
	ds_read_u16 v6, v20
	ds_read_u16 v7, v22
	ds_read_u16 v8, v24
	ds_read_u16 v9, v27
	s_waitcnt lgkmcnt(7)
	v_add_u32_sdwa v93, v2, v10 dst_sel:DWORD dst_unused:UNUSED_PAD src0_sel:DWORD src1_sel:WORD_0
	s_waitcnt lgkmcnt(6)
	v_add_u32_sdwa v92, v3, v11 dst_sel:DWORD dst_unused:UNUSED_PAD src0_sel:DWORD src1_sel:WORD_0
	s_waitcnt lgkmcnt(5)
	v_add_u32_sdwa v90, v4, v13 dst_sel:DWORD dst_unused:UNUSED_PAD src0_sel:DWORD src1_sel:WORD_0
	s_waitcnt lgkmcnt(4)
	v_add_u32_sdwa v89, v5, v15 dst_sel:DWORD dst_unused:UNUSED_PAD src0_sel:DWORD src1_sel:WORD_0
	s_waitcnt lgkmcnt(3)
	v_add_u32_sdwa v88, v6, v17 dst_sel:DWORD dst_unused:UNUSED_PAD src0_sel:DWORD src1_sel:WORD_0
	s_waitcnt lgkmcnt(2)
	v_add_u32_sdwa v87, v7, v19 dst_sel:DWORD dst_unused:UNUSED_PAD src0_sel:DWORD src1_sel:WORD_0
	s_waitcnt lgkmcnt(1)
	v_add_u32_sdwa v85, v8, v21 dst_sel:DWORD dst_unused:UNUSED_PAD src0_sel:DWORD src1_sel:WORD_0
	s_waitcnt lgkmcnt(0)
	v_add_u32_sdwa v83, v9, v25 dst_sel:DWORD dst_unused:UNUSED_PAD src0_sel:DWORD src1_sel:WORD_0
	ds_read_u16 v2, v28
	ds_read_u16 v3, v30
	ds_read_u16 v4, v32
	ds_read_u16 v5, v74
	ds_read_u16 v6, v76
	ds_read_u16 v7, v77
	ds_read_u16 v8, v80
	ds_read_u16 v9, v84
	s_waitcnt lgkmcnt(7)
	v_add_u32_sdwa v96, v2, v23 dst_sel:DWORD dst_unused:UNUSED_PAD src0_sel:DWORD src1_sel:WORD_0
	s_waitcnt lgkmcnt(6)
	v_add_u32_sdwa v95, v3, v26 dst_sel:DWORD dst_unused:UNUSED_PAD src0_sel:DWORD src1_sel:WORD_0
	s_waitcnt lgkmcnt(5)
	v_add_u32_sdwa v84, v4, v29 dst_sel:DWORD dst_unused:UNUSED_PAD src0_sel:DWORD src1_sel:WORD_0
	s_waitcnt lgkmcnt(4)
	v_add_u32_sdwa v80, v5, v31 dst_sel:DWORD dst_unused:UNUSED_PAD src0_sel:DWORD src1_sel:WORD_0
	s_waitcnt lgkmcnt(3)
	v_add_u32_sdwa v77, v6, v33 dst_sel:DWORD dst_unused:UNUSED_PAD src0_sel:DWORD src1_sel:WORD_0
	s_waitcnt lgkmcnt(2)
	v_add_u32_sdwa v76, v7, v75 dst_sel:DWORD dst_unused:UNUSED_PAD src0_sel:DWORD src1_sel:WORD_0
	s_waitcnt lgkmcnt(1)
	v_add_u32_sdwa v75, v8, v78 dst_sel:DWORD dst_unused:UNUSED_PAD src0_sel:DWORD src1_sel:WORD_0
	s_waitcnt lgkmcnt(0)
	v_add_u32_sdwa v74, v9, v81 dst_sel:DWORD dst_unused:UNUSED_PAD src0_sel:DWORD src1_sel:WORD_0
	;; [unrolled: 24-line block ×4, first 2 shown]
	s_cbranch_scc0 .LBB18_5
; %bb.16:
                                        ; implicit-def: $vgpr2_vgpr3
                                        ; implicit-def: $vgpr6_vgpr7
                                        ; implicit-def: $vgpr10_vgpr11
                                        ; implicit-def: $vgpr14_vgpr15
                                        ; implicit-def: $vgpr18_vgpr19
                                        ; implicit-def: $vgpr22_vgpr23
                                        ; implicit-def: $vgpr26_vgpr27
                                        ; implicit-def: $vgpr30_vgpr31
                                        ; implicit-def: $sgpr7
.LBB18_17:
	v_lshlrev_b32_e32 v1, 2, v93
	s_waitcnt lgkmcnt(0)
	; wave barrier
	ds_write_b32 v1, v66
	v_lshlrev_b32_e32 v1, 2, v92
	ds_write_b32 v1, v67
	v_lshlrev_b32_e32 v1, 2, v90
	;; [unrolled: 2-line block ×31, first 2 shown]
	ds_write_b32 v1, v35
	s_waitcnt lgkmcnt(0)
	; wave barrier
	s_waitcnt lgkmcnt(0)
	ds_read2_b32 v[2:3], v70 offset1:1
	ds_read2_b32 v[4:5], v70 offset0:2 offset1:3
	ds_read2_b32 v[6:7], v70 offset0:4 offset1:5
	;; [unrolled: 1-line block ×15, first 2 shown]
	s_waitcnt lgkmcnt(0)
	; wave barrier
	s_waitcnt lgkmcnt(0)
	s_and_saveexec_b64 s[8:9], s[4:5]
	s_cbranch_execz .LBB18_20
; %bb.18:
	v_lshl_add_u32 v1, v0, 2, 48
	s_mov_b64 s[10:11], 0
	v_mov_b32_e32 v34, 0xc0
	v_mov_b32_e32 v35, v0
.LBB18_19:                              ; =>This Inner Loop Header: Depth=1
	v_add_u32_e32 v35, 6, v35
	v_cmp_lt_u32_e32 vcc, 17, v35
	ds_write2_b32 v1, v34, v34 offset1:18
	s_or_b64 s[10:11], vcc, s[10:11]
	v_add_u32_e32 v1, 24, v1
	s_andn2_b64 exec, exec, s[10:11]
	s_cbranch_execnz .LBB18_19
.LBB18_20:
	s_or_b64 exec, exec, s[8:9]
	v_cmp_ne_u32_e32 vcc, v32, v33
	v_lshlrev_b32_e32 v1, 2, v32
	s_waitcnt lgkmcnt(0)
	; wave barrier
	s_waitcnt lgkmcnt(0)
	ds_write_b32 v68, v33
	s_and_saveexec_b64 s[8:9], vcc
	s_cbranch_execz .LBB18_22
; %bb.21:
	v_or_b32_e32 v34, 31, v69
	v_lshlrev_b32_e32 v33, 2, v33
	ds_write_b32 v33, v34 offset:48
	ds_write_b32 v1, v34 offset:120
.LBB18_22:
	s_or_b64 exec, exec, s[8:9]
	v_cmp_ne_u32_e32 vcc, v31, v32
	v_lshlrev_b32_e32 v32, 2, v31
	s_and_saveexec_b64 s[8:9], vcc
	s_cbranch_execz .LBB18_24
; %bb.23:
	v_or_b32_e32 v33, 30, v69
	ds_write_b32 v1, v33 offset:48
	ds_write_b32 v32, v33 offset:120
.LBB18_24:
	s_or_b64 exec, exec, s[8:9]
	v_cmp_ne_u32_e32 vcc, v30, v31
	v_lshlrev_b32_e32 v1, 2, v30
	s_and_saveexec_b64 s[8:9], vcc
	s_cbranch_execz .LBB18_26
; %bb.25:
	v_or_b32_e32 v31, 29, v69
	ds_write_b32 v32, v31 offset:48
	ds_write_b32 v1, v31 offset:120
.LBB18_26:
	;; [unrolled: 10-line block ×30, first 2 shown]
	s_or_b64 exec, exec, s[8:9]
	v_cmp_eq_u32_e32 vcc, 0, v0
	v_cmp_ne_u32_e64 s[8:9], 0, v0
	s_waitcnt lgkmcnt(0)
	; wave barrier
	s_waitcnt lgkmcnt(0)
	s_and_saveexec_b64 s[10:11], s[8:9]
	s_cbranch_execz .LBB18_85
; %bb.83:
	v_add_u32_e32 v3, -4, v68
	ds_read_b32 v4, v3
	s_waitcnt lgkmcnt(0)
	v_cmp_ne_u32_e64 s[8:9], v4, v2
	s_and_b64 exec, exec, s[8:9]
	s_cbranch_execz .LBB18_85
; %bb.84:
	ds_write_b32 v1, v69 offset:48
	ds_read_b32 v2, v3
	s_waitcnt lgkmcnt(0)
	v_lshlrev_b32_e32 v2, 2, v2
	ds_write_b32 v2, v69 offset:120
.LBB18_85:
	s_or_b64 exec, exec, s[10:11]
	s_waitcnt lgkmcnt(0)
	; wave barrier
	s_waitcnt lgkmcnt(0)
	s_and_saveexec_b64 s[8:9], vcc
	s_cbranch_execz .LBB18_87
; %bb.86:
	v_mov_b32_e32 v2, 0
	ds_write_b32 v1, v2 offset:48
.LBB18_87:
	s_or_b64 exec, exec, s[8:9]
	s_waitcnt lgkmcnt(0)
	; wave barrier
	s_waitcnt lgkmcnt(0)
	s_and_saveexec_b64 s[8:9], s[4:5]
	s_cbranch_execnz .LBB18_97
; %bb.88:
	s_or_b64 exec, exec, s[8:9]
	s_and_saveexec_b64 s[8:9], s[2:3]
	s_cbranch_execnz .LBB18_98
.LBB18_89:
	s_or_b64 exec, exec, s[8:9]
	s_and_saveexec_b64 s[8:9], s[0:1]
	s_cbranch_execz .LBB18_91
.LBB18_90:
	ds_read2_b32 v[2:3], v68 offset0:24 offset1:42
	ds_read_b32 v1, v68 offset:816
	s_waitcnt lgkmcnt(1)
	v_sub_u32_e32 v2, v3, v2
	s_waitcnt lgkmcnt(0)
	v_add_u32_e32 v1, v2, v1
	ds_write_b32 v68, v1 offset:816
.LBB18_91:
	s_or_b64 exec, exec, s[8:9]
	s_mul_i32 s8, s6, 18
	v_mov_b32_e32 v1, s8
	s_waitcnt lgkmcnt(0)
	; wave barrier
	s_waitcnt lgkmcnt(0)
	s_and_saveexec_b64 s[6:7], s[4:5]
	s_cbranch_execnz .LBB18_99
; %bb.92:
	s_or_b64 exec, exec, s[6:7]
	s_and_saveexec_b64 s[4:5], s[2:3]
	s_cbranch_execnz .LBB18_100
.LBB18_93:
	s_or_b64 exec, exec, s[4:5]
	s_and_saveexec_b64 s[2:3], s[0:1]
	s_cbranch_execnz .LBB18_101
.LBB18_94:
	s_endpgm
.LBB18_95:
	ds_write_b32 v68, v35 offset:768
	s_or_b64 exec, exec, s[0:1]
	v_cmp_gt_u32_e64 s[2:3], 12, v0
	s_and_saveexec_b64 s[0:1], s[2:3]
	s_cbranch_execz .LBB18_2
.LBB18_96:
	v_mov_b32_e32 v1, 0
	ds_write_b32 v68, v1 offset:792
	s_or_b64 exec, exec, s[0:1]
	v_cmp_gt_u32_e64 s[0:1], 6, v0
	s_and_saveexec_b64 s[8:9], s[0:1]
	s_cbranch_execnz .LBB18_3
	s_branch .LBB18_4
.LBB18_97:
	ds_read2_b32 v[2:3], v68 offset0:12 offset1:30
	ds_read_b32 v1, v68 offset:768
	s_waitcnt lgkmcnt(1)
	v_sub_u32_e32 v2, v3, v2
	s_waitcnt lgkmcnt(0)
	v_add_u32_e32 v1, v2, v1
	ds_write_b32 v68, v1 offset:768
	s_or_b64 exec, exec, s[8:9]
	s_and_saveexec_b64 s[8:9], s[2:3]
	s_cbranch_execz .LBB18_89
.LBB18_98:
	ds_read2_b32 v[2:3], v68 offset0:18 offset1:36
	ds_read_b32 v1, v68 offset:792
	s_waitcnt lgkmcnt(1)
	v_sub_u32_e32 v2, v3, v2
	s_waitcnt lgkmcnt(0)
	v_add_u32_e32 v1, v2, v1
	ds_write_b32 v68, v1 offset:792
	s_or_b64 exec, exec, s[8:9]
	s_and_saveexec_b64 s[8:9], s[0:1]
	s_cbranch_execnz .LBB18_90
	s_branch .LBB18_91
.LBB18_99:
	ds_read_b32 v4, v68 offset:768
	v_add_u32_e32 v2, s8, v0
	v_mov_b32_e32 v3, 0
	v_lshlrev_b64 v[2:3], 2, v[2:3]
	s_add_i32 s4, s8, 6
	v_mov_b32_e32 v1, s23
	v_add_co_u32_e32 v2, vcc, s22, v2
	v_addc_co_u32_e32 v3, vcc, v1, v3, vcc
	v_mov_b32_e32 v1, s4
	s_waitcnt lgkmcnt(0)
	global_store_dword v[2:3], v4, off
	s_or_b64 exec, exec, s[6:7]
	s_and_saveexec_b64 s[4:5], s[2:3]
	s_cbranch_execz .LBB18_93
.LBB18_100:
	ds_read_b32 v5, v68 offset:792
	v_add_u32_e32 v2, v1, v0
	v_mov_b32_e32 v3, 0
	v_lshlrev_b64 v[2:3], 2, v[2:3]
	v_add_u32_e32 v4, 6, v1
	v_mov_b32_e32 v1, s23
	v_add_co_u32_e32 v2, vcc, s22, v2
	v_addc_co_u32_e32 v3, vcc, v1, v3, vcc
	v_mov_b32_e32 v1, v4
	s_waitcnt lgkmcnt(0)
	global_store_dword v[2:3], v5, off
	s_or_b64 exec, exec, s[4:5]
	s_and_saveexec_b64 s[2:3], s[0:1]
	s_cbranch_execz .LBB18_94
.LBB18_101:
	ds_read_b32 v3, v68 offset:816
	v_add_u32_e32 v0, v1, v0
	v_mov_b32_e32 v1, 0
	v_lshlrev_b64 v[0:1], 2, v[0:1]
	v_mov_b32_e32 v2, s23
	v_add_co_u32_e32 v0, vcc, s22, v0
	v_addc_co_u32_e32 v1, vcc, v2, v1, vcc
	s_waitcnt lgkmcnt(0)
	global_store_dword v[0:1], v3, off
	s_endpgm
	.section	.rodata,"a",@progbits
	.p2align	6, 0x0
	.amdhsa_kernel _Z16histogram_kernelILj6ELj32ELj18ELN6hipcub23BlockHistogramAlgorithmE1EjEvPT3_S3_
		.amdhsa_group_segment_fixed_size 840
		.amdhsa_private_segment_fixed_size 0
		.amdhsa_kernarg_size 16
		.amdhsa_user_sgpr_count 6
		.amdhsa_user_sgpr_private_segment_buffer 1
		.amdhsa_user_sgpr_dispatch_ptr 0
		.amdhsa_user_sgpr_queue_ptr 0
		.amdhsa_user_sgpr_kernarg_segment_ptr 1
		.amdhsa_user_sgpr_dispatch_id 0
		.amdhsa_user_sgpr_flat_scratch_init 0
		.amdhsa_user_sgpr_kernarg_preload_length 0
		.amdhsa_user_sgpr_kernarg_preload_offset 0
		.amdhsa_user_sgpr_private_segment_size 0
		.amdhsa_uses_dynamic_stack 0
		.amdhsa_system_sgpr_private_segment_wavefront_offset 0
		.amdhsa_system_sgpr_workgroup_id_x 1
		.amdhsa_system_sgpr_workgroup_id_y 0
		.amdhsa_system_sgpr_workgroup_id_z 0
		.amdhsa_system_sgpr_workgroup_info 0
		.amdhsa_system_vgpr_workitem_id 0
		.amdhsa_next_free_vgpr 124
		.amdhsa_next_free_sgpr 31
		.amdhsa_accum_offset 124
		.amdhsa_reserve_vcc 1
		.amdhsa_reserve_flat_scratch 0
		.amdhsa_float_round_mode_32 0
		.amdhsa_float_round_mode_16_64 0
		.amdhsa_float_denorm_mode_32 3
		.amdhsa_float_denorm_mode_16_64 3
		.amdhsa_dx10_clamp 1
		.amdhsa_ieee_mode 1
		.amdhsa_fp16_overflow 0
		.amdhsa_tg_split 0
		.amdhsa_exception_fp_ieee_invalid_op 0
		.amdhsa_exception_fp_denorm_src 0
		.amdhsa_exception_fp_ieee_div_zero 0
		.amdhsa_exception_fp_ieee_overflow 0
		.amdhsa_exception_fp_ieee_underflow 0
		.amdhsa_exception_fp_ieee_inexact 0
		.amdhsa_exception_int_div_zero 0
	.end_amdhsa_kernel
	.section	.text._Z16histogram_kernelILj6ELj32ELj18ELN6hipcub23BlockHistogramAlgorithmE1EjEvPT3_S3_,"axG",@progbits,_Z16histogram_kernelILj6ELj32ELj18ELN6hipcub23BlockHistogramAlgorithmE1EjEvPT3_S3_,comdat
.Lfunc_end18:
	.size	_Z16histogram_kernelILj6ELj32ELj18ELN6hipcub23BlockHistogramAlgorithmE1EjEvPT3_S3_, .Lfunc_end18-_Z16histogram_kernelILj6ELj32ELj18ELN6hipcub23BlockHistogramAlgorithmE1EjEvPT3_S3_
                                        ; -- End function
	.section	.AMDGPU.csdata,"",@progbits
; Kernel info:
; codeLenInByte = 6500
; NumSgprs: 35
; NumVgprs: 124
; NumAgprs: 0
; TotalNumVgprs: 124
; ScratchSize: 0
; MemoryBound: 0
; FloatMode: 240
; IeeeMode: 1
; LDSByteSize: 840 bytes/workgroup (compile time only)
; SGPRBlocks: 4
; VGPRBlocks: 15
; NumSGPRsForWavesPerEU: 35
; NumVGPRsForWavesPerEU: 124
; AccumOffset: 124
; Occupancy: 4
; WaveLimiterHint : 0
; COMPUTE_PGM_RSRC2:SCRATCH_EN: 0
; COMPUTE_PGM_RSRC2:USER_SGPR: 6
; COMPUTE_PGM_RSRC2:TRAP_HANDLER: 0
; COMPUTE_PGM_RSRC2:TGID_X_EN: 1
; COMPUTE_PGM_RSRC2:TGID_Y_EN: 0
; COMPUTE_PGM_RSRC2:TGID_Z_EN: 0
; COMPUTE_PGM_RSRC2:TIDIG_COMP_CNT: 0
; COMPUTE_PGM_RSRC3_GFX90A:ACCUM_OFFSET: 30
; COMPUTE_PGM_RSRC3_GFX90A:TG_SPLIT: 0
	.section	.text._Z16histogram_kernelILj255ELj15ELj255ELN6hipcub23BlockHistogramAlgorithmE0EjEvPT3_S3_,"axG",@progbits,_Z16histogram_kernelILj255ELj15ELj255ELN6hipcub23BlockHistogramAlgorithmE0EjEvPT3_S3_,comdat
	.protected	_Z16histogram_kernelILj255ELj15ELj255ELN6hipcub23BlockHistogramAlgorithmE0EjEvPT3_S3_ ; -- Begin function _Z16histogram_kernelILj255ELj15ELj255ELN6hipcub23BlockHistogramAlgorithmE0EjEvPT3_S3_
	.globl	_Z16histogram_kernelILj255ELj15ELj255ELN6hipcub23BlockHistogramAlgorithmE0EjEvPT3_S3_
	.p2align	8
	.type	_Z16histogram_kernelILj255ELj15ELj255ELN6hipcub23BlockHistogramAlgorithmE0EjEvPT3_S3_,@function
_Z16histogram_kernelILj255ELj15ELj255ELN6hipcub23BlockHistogramAlgorithmE0EjEvPT3_S3_: ; @_Z16histogram_kernelILj255ELj15ELj255ELN6hipcub23BlockHistogramAlgorithmE0EjEvPT3_S3_
; %bb.0:
	s_load_dwordx4 s[0:3], s[4:5], 0x0
	s_mulk_i32 s6, 0xff
	v_add_u32_e32 v2, s6, v0
	v_mov_b32_e32 v4, 0
	v_mul_lo_u32 v6, v2, 15
	v_mov_b32_e32 v7, v4
	v_lshlrev_b64 v[8:9], 2, v[6:7]
	s_waitcnt lgkmcnt(0)
	v_mov_b32_e32 v1, s1
	v_add_co_u32_e32 v8, vcc, s0, v8
	v_add_u32_e32 v10, 1, v6
	v_mov_b32_e32 v11, v4
	v_addc_co_u32_e32 v9, vcc, v1, v9, vcc
	v_lshlrev_b64 v[10:11], 2, v[10:11]
	v_add_co_u32_e32 v10, vcc, s0, v10
	v_add_u32_e32 v12, 2, v6
	v_mov_b32_e32 v13, v4
	v_addc_co_u32_e32 v11, vcc, v1, v11, vcc
	v_lshlrev_b64 v[12:13], 2, v[12:13]
	v_add_co_u32_e32 v22, vcc, s0, v12
	v_addc_co_u32_e32 v23, vcc, v1, v13, vcc
	v_add_u32_e32 v12, 3, v6
	v_mov_b32_e32 v13, v4
	v_lshlrev_b64 v[12:13], 2, v[12:13]
	v_add_co_u32_e32 v24, vcc, s0, v12
	v_addc_co_u32_e32 v25, vcc, v1, v13, vcc
	v_add_u32_e32 v12, 4, v6
	v_mov_b32_e32 v13, v4
	;; [unrolled: 5-line block ×5, first 2 shown]
	v_lshlrev_b64 v[12:13], 2, v[12:13]
	v_add_co_u32_e32 v32, vcc, s0, v12
	v_addc_co_u32_e32 v33, vcc, v1, v13, vcc
	global_load_dword v20, v[8:9], off
	global_load_dword v19, v[10:11], off
	;; [unrolled: 1-line block ×8, first 2 shown]
	v_add_u32_e32 v8, 8, v6
	v_mov_b32_e32 v9, v4
	v_lshlrev_b64 v[8:9], 2, v[8:9]
	v_add_co_u32_e32 v22, vcc, s0, v8
	v_addc_co_u32_e32 v23, vcc, v1, v9, vcc
	v_add_u32_e32 v8, 9, v6
	v_mov_b32_e32 v9, v4
	v_lshlrev_b64 v[8:9], 2, v[8:9]
	v_add_co_u32_e32 v24, vcc, s0, v8
	v_addc_co_u32_e32 v25, vcc, v1, v9, vcc
	;; [unrolled: 5-line block ×5, first 2 shown]
	v_add_u32_e32 v8, 13, v6
	v_mov_b32_e32 v9, v4
	v_lshlrev_b64 v[8:9], 2, v[8:9]
	v_add_co_u32_e32 v32, vcc, s0, v8
	v_add_u32_e32 v6, 14, v6
	v_addc_co_u32_e32 v33, vcc, v1, v9, vcc
	v_lshlrev_b64 v[6:7], 2, v[6:7]
	v_add_co_u32_e32 v34, vcc, s0, v6
	v_addc_co_u32_e32 v35, vcc, v1, v7, vcc
	global_load_dword v12, v[22:23], off
	global_load_dword v11, v[24:25], off
	;; [unrolled: 1-line block ×7, first 2 shown]
	s_movk_i32 s0, 0xff
	v_cmp_gt_u32_e32 vcc, s0, v0
	v_lshlrev_b32_e32 v6, 2, v0
	s_and_saveexec_b64 s[0:1], vcc
	s_cbranch_execz .LBB19_2
; %bb.1:
	ds_write_b32 v6, v4
.LBB19_2:
	s_or_b64 exec, exec, s[0:1]
	s_waitcnt vmcnt(14)
	v_and_b32_e32 v0, 1, v20
	v_add_co_u32_e64 v1, s[0:1], -1, v0
	v_addc_co_u32_e64 v5, s[0:1], 0, -1, s[0:1]
	v_cmp_ne_u32_e64 s[0:1], 0, v0
	v_xor_b32_e32 v0, s1, v5
	v_lshlrev_b32_e32 v5, 30, v20
	v_xor_b32_e32 v1, s0, v1
	v_cmp_gt_i64_e64 s[0:1], 0, v[4:5]
	v_not_b32_e32 v5, v5
	v_ashrrev_i32_e32 v5, 31, v5
	v_and_b32_e32 v1, exec_lo, v1
	v_xor_b32_e32 v21, s1, v5
	v_xor_b32_e32 v5, s0, v5
	v_and_b32_e32 v1, v1, v5
	v_lshlrev_b32_e32 v5, 29, v20
	v_cmp_gt_i64_e64 s[0:1], 0, v[4:5]
	v_not_b32_e32 v5, v5
	v_and_b32_e32 v0, exec_hi, v0
	v_ashrrev_i32_e32 v5, 31, v5
	v_and_b32_e32 v0, v0, v21
	v_xor_b32_e32 v21, s1, v5
	v_xor_b32_e32 v5, s0, v5
	v_and_b32_e32 v1, v1, v5
	v_lshlrev_b32_e32 v5, 28, v20
	v_cmp_gt_i64_e64 s[0:1], 0, v[4:5]
	v_not_b32_e32 v5, v5
	v_ashrrev_i32_e32 v5, 31, v5
	v_and_b32_e32 v0, v0, v21
	v_xor_b32_e32 v21, s1, v5
	v_xor_b32_e32 v5, s0, v5
	v_and_b32_e32 v1, v1, v5
	v_lshlrev_b32_e32 v5, 27, v20
	v_cmp_gt_i64_e64 s[0:1], 0, v[4:5]
	v_not_b32_e32 v5, v5
	;; [unrolled: 8-line block ×4, first 2 shown]
	v_ashrrev_i32_e32 v5, 31, v5
	v_and_b32_e32 v0, v0, v21
	v_xor_b32_e32 v21, s1, v5
	v_xor_b32_e32 v5, s0, v5
	v_and_b32_e32 v0, v0, v21
	v_and_b32_e32 v21, v1, v5
	v_lshlrev_b32_e32 v5, 24, v20
	v_not_b32_e32 v1, v5
	v_cmp_gt_i64_e64 s[0:1], 0, v[4:5]
	v_ashrrev_i32_e32 v1, 31, v1
	v_xor_b32_e32 v4, s1, v1
	v_xor_b32_e32 v5, s0, v1
	v_and_b32_e32 v1, v0, v4
	v_and_b32_e32 v0, v21, v5
	v_mbcnt_lo_u32_b32 v4, v0, 0
	v_mbcnt_hi_u32_b32 v4, v1, v4
	v_cmp_eq_u32_e64 s[0:1], 0, v4
	s_waitcnt lgkmcnt(0)
	s_barrier
	s_and_saveexec_b64 s[4:5], s[0:1]
	s_cbranch_execz .LBB19_4
; %bb.3:
	v_bcnt_u32_b32 v0, v0, 0
	v_lshlrev_b32_e32 v4, 2, v20
	v_bcnt_u32_b32 v0, v1, v0
	ds_add_u32 v4, v0
.LBB19_4:
	s_or_b64 exec, exec, s[4:5]
	s_waitcnt vmcnt(13)
	v_and_b32_e32 v1, 1, v19
	v_add_co_u32_e64 v4, s[0:1], -1, v1
	v_addc_co_u32_e64 v5, s[0:1], 0, -1, s[0:1]
	v_cmp_ne_u32_e64 s[0:1], 0, v1
	v_xor_b32_e32 v1, s1, v5
	v_mov_b32_e32 v0, 0
	v_and_b32_e32 v5, exec_hi, v1
	v_lshlrev_b32_e32 v1, 30, v19
	v_xor_b32_e32 v4, s0, v4
	v_cmp_gt_i64_e64 s[0:1], 0, v[0:1]
	v_not_b32_e32 v1, v1
	v_ashrrev_i32_e32 v1, 31, v1
	v_and_b32_e32 v4, exec_lo, v4
	v_xor_b32_e32 v20, s1, v1
	v_xor_b32_e32 v1, s0, v1
	v_and_b32_e32 v4, v4, v1
	v_lshlrev_b32_e32 v1, 29, v19
	v_cmp_gt_i64_e64 s[0:1], 0, v[0:1]
	v_not_b32_e32 v1, v1
	v_ashrrev_i32_e32 v1, 31, v1
	v_and_b32_e32 v5, v5, v20
	v_xor_b32_e32 v20, s1, v1
	v_xor_b32_e32 v1, s0, v1
	v_and_b32_e32 v4, v4, v1
	v_lshlrev_b32_e32 v1, 28, v19
	v_cmp_gt_i64_e64 s[0:1], 0, v[0:1]
	v_not_b32_e32 v1, v1
	v_ashrrev_i32_e32 v1, 31, v1
	v_and_b32_e32 v5, v5, v20
	;; [unrolled: 8-line block ×5, first 2 shown]
	v_xor_b32_e32 v20, s1, v1
	v_xor_b32_e32 v1, s0, v1
	v_and_b32_e32 v4, v4, v1
	v_lshlrev_b32_e32 v1, 24, v19
	v_cmp_gt_i64_e64 s[0:1], 0, v[0:1]
	v_not_b32_e32 v1, v1
	v_ashrrev_i32_e32 v1, 31, v1
	v_xor_b32_e32 v21, s0, v1
	v_and_b32_e32 v5, v5, v20
	v_xor_b32_e32 v20, s1, v1
	v_and_b32_e32 v4, v4, v21
	v_and_b32_e32 v1, v5, v20
	v_mbcnt_lo_u32_b32 v5, v4, 0
	v_mbcnt_hi_u32_b32 v5, v1, v5
	v_cmp_eq_u32_e64 s[0:1], 0, v5
	s_and_saveexec_b64 s[4:5], s[0:1]
	s_cbranch_execz .LBB19_6
; %bb.5:
	v_bcnt_u32_b32 v4, v4, 0
	v_lshlrev_b32_e32 v5, 2, v19
	v_bcnt_u32_b32 v1, v1, v4
	ds_add_u32 v5, v1
.LBB19_6:
	s_or_b64 exec, exec, s[4:5]
	s_waitcnt vmcnt(12)
	v_and_b32_e32 v1, 1, v18
	v_add_co_u32_e64 v4, s[0:1], -1, v1
	v_addc_co_u32_e64 v5, s[0:1], 0, -1, s[0:1]
	v_cmp_ne_u32_e64 s[0:1], 0, v1
	v_xor_b32_e32 v1, s1, v5
	v_and_b32_e32 v5, exec_hi, v1
	v_lshlrev_b32_e32 v1, 30, v18
	v_xor_b32_e32 v4, s0, v4
	v_cmp_gt_i64_e64 s[0:1], 0, v[0:1]
	v_not_b32_e32 v1, v1
	v_ashrrev_i32_e32 v1, 31, v1
	v_and_b32_e32 v4, exec_lo, v4
	v_xor_b32_e32 v19, s1, v1
	v_xor_b32_e32 v1, s0, v1
	v_and_b32_e32 v4, v4, v1
	v_lshlrev_b32_e32 v1, 29, v18
	v_cmp_gt_i64_e64 s[0:1], 0, v[0:1]
	v_not_b32_e32 v1, v1
	v_ashrrev_i32_e32 v1, 31, v1
	v_and_b32_e32 v5, v5, v19
	v_xor_b32_e32 v19, s1, v1
	v_xor_b32_e32 v1, s0, v1
	v_and_b32_e32 v4, v4, v1
	v_lshlrev_b32_e32 v1, 28, v18
	v_cmp_gt_i64_e64 s[0:1], 0, v[0:1]
	v_not_b32_e32 v1, v1
	v_ashrrev_i32_e32 v1, 31, v1
	v_and_b32_e32 v5, v5, v19
	;; [unrolled: 8-line block ×5, first 2 shown]
	v_xor_b32_e32 v19, s1, v1
	v_xor_b32_e32 v1, s0, v1
	v_and_b32_e32 v4, v4, v1
	v_lshlrev_b32_e32 v1, 24, v18
	v_cmp_gt_i64_e64 s[0:1], 0, v[0:1]
	v_not_b32_e32 v0, v1
	v_ashrrev_i32_e32 v0, 31, v0
	v_xor_b32_e32 v1, s1, v0
	v_xor_b32_e32 v0, s0, v0
	v_and_b32_e32 v5, v5, v19
	v_and_b32_e32 v0, v4, v0
	;; [unrolled: 1-line block ×3, first 2 shown]
	v_mbcnt_lo_u32_b32 v4, v0, 0
	v_mbcnt_hi_u32_b32 v4, v1, v4
	v_cmp_eq_u32_e64 s[0:1], 0, v4
	s_and_saveexec_b64 s[4:5], s[0:1]
	s_cbranch_execz .LBB19_8
; %bb.7:
	v_bcnt_u32_b32 v0, v0, 0
	v_lshlrev_b32_e32 v4, 2, v18
	v_bcnt_u32_b32 v0, v1, v0
	ds_add_u32 v4, v0
.LBB19_8:
	s_or_b64 exec, exec, s[4:5]
	s_waitcnt vmcnt(11)
	v_and_b32_e32 v1, 1, v17
	v_add_co_u32_e64 v4, s[0:1], -1, v1
	v_addc_co_u32_e64 v5, s[0:1], 0, -1, s[0:1]
	v_cmp_ne_u32_e64 s[0:1], 0, v1
	v_xor_b32_e32 v1, s1, v5
	v_mov_b32_e32 v0, 0
	v_and_b32_e32 v5, exec_hi, v1
	v_lshlrev_b32_e32 v1, 30, v17
	v_xor_b32_e32 v4, s0, v4
	v_cmp_gt_i64_e64 s[0:1], 0, v[0:1]
	v_not_b32_e32 v1, v1
	v_ashrrev_i32_e32 v1, 31, v1
	v_and_b32_e32 v4, exec_lo, v4
	v_xor_b32_e32 v18, s1, v1
	v_xor_b32_e32 v1, s0, v1
	v_and_b32_e32 v4, v4, v1
	v_lshlrev_b32_e32 v1, 29, v17
	v_cmp_gt_i64_e64 s[0:1], 0, v[0:1]
	v_not_b32_e32 v1, v1
	v_ashrrev_i32_e32 v1, 31, v1
	v_and_b32_e32 v5, v5, v18
	v_xor_b32_e32 v18, s1, v1
	v_xor_b32_e32 v1, s0, v1
	v_and_b32_e32 v4, v4, v1
	v_lshlrev_b32_e32 v1, 28, v17
	v_cmp_gt_i64_e64 s[0:1], 0, v[0:1]
	v_not_b32_e32 v1, v1
	v_ashrrev_i32_e32 v1, 31, v1
	v_and_b32_e32 v5, v5, v18
	;; [unrolled: 8-line block ×5, first 2 shown]
	v_xor_b32_e32 v18, s1, v1
	v_xor_b32_e32 v1, s0, v1
	v_and_b32_e32 v4, v4, v1
	v_lshlrev_b32_e32 v1, 24, v17
	v_cmp_gt_i64_e64 s[0:1], 0, v[0:1]
	v_not_b32_e32 v1, v1
	v_ashrrev_i32_e32 v1, 31, v1
	v_xor_b32_e32 v19, s0, v1
	v_and_b32_e32 v5, v5, v18
	v_xor_b32_e32 v18, s1, v1
	v_and_b32_e32 v4, v4, v19
	v_and_b32_e32 v1, v5, v18
	v_mbcnt_lo_u32_b32 v5, v4, 0
	v_mbcnt_hi_u32_b32 v5, v1, v5
	v_cmp_eq_u32_e64 s[0:1], 0, v5
	s_and_saveexec_b64 s[4:5], s[0:1]
	s_cbranch_execz .LBB19_10
; %bb.9:
	v_bcnt_u32_b32 v4, v4, 0
	v_lshlrev_b32_e32 v5, 2, v17
	v_bcnt_u32_b32 v1, v1, v4
	ds_add_u32 v5, v1
.LBB19_10:
	s_or_b64 exec, exec, s[4:5]
	s_waitcnt vmcnt(10)
	v_and_b32_e32 v1, 1, v16
	v_add_co_u32_e64 v4, s[0:1], -1, v1
	v_addc_co_u32_e64 v5, s[0:1], 0, -1, s[0:1]
	v_cmp_ne_u32_e64 s[0:1], 0, v1
	v_xor_b32_e32 v1, s1, v5
	v_and_b32_e32 v5, exec_hi, v1
	v_lshlrev_b32_e32 v1, 30, v16
	v_xor_b32_e32 v4, s0, v4
	v_cmp_gt_i64_e64 s[0:1], 0, v[0:1]
	v_not_b32_e32 v1, v1
	v_ashrrev_i32_e32 v1, 31, v1
	v_and_b32_e32 v4, exec_lo, v4
	v_xor_b32_e32 v17, s1, v1
	v_xor_b32_e32 v1, s0, v1
	v_and_b32_e32 v4, v4, v1
	v_lshlrev_b32_e32 v1, 29, v16
	v_cmp_gt_i64_e64 s[0:1], 0, v[0:1]
	v_not_b32_e32 v1, v1
	v_ashrrev_i32_e32 v1, 31, v1
	v_and_b32_e32 v5, v5, v17
	v_xor_b32_e32 v17, s1, v1
	v_xor_b32_e32 v1, s0, v1
	v_and_b32_e32 v4, v4, v1
	v_lshlrev_b32_e32 v1, 28, v16
	v_cmp_gt_i64_e64 s[0:1], 0, v[0:1]
	v_not_b32_e32 v1, v1
	v_ashrrev_i32_e32 v1, 31, v1
	v_and_b32_e32 v5, v5, v17
	;; [unrolled: 8-line block ×5, first 2 shown]
	v_xor_b32_e32 v17, s1, v1
	v_xor_b32_e32 v1, s0, v1
	v_and_b32_e32 v4, v4, v1
	v_lshlrev_b32_e32 v1, 24, v16
	v_cmp_gt_i64_e64 s[0:1], 0, v[0:1]
	v_not_b32_e32 v0, v1
	v_ashrrev_i32_e32 v0, 31, v0
	v_xor_b32_e32 v1, s1, v0
	v_xor_b32_e32 v0, s0, v0
	v_and_b32_e32 v5, v5, v17
	v_and_b32_e32 v0, v4, v0
	;; [unrolled: 1-line block ×3, first 2 shown]
	v_mbcnt_lo_u32_b32 v4, v0, 0
	v_mbcnt_hi_u32_b32 v4, v1, v4
	v_cmp_eq_u32_e64 s[0:1], 0, v4
	s_and_saveexec_b64 s[4:5], s[0:1]
	s_cbranch_execz .LBB19_12
; %bb.11:
	v_bcnt_u32_b32 v0, v0, 0
	v_lshlrev_b32_e32 v4, 2, v16
	v_bcnt_u32_b32 v0, v1, v0
	ds_add_u32 v4, v0
.LBB19_12:
	s_or_b64 exec, exec, s[4:5]
	s_waitcnt vmcnt(9)
	v_and_b32_e32 v1, 1, v15
	v_add_co_u32_e64 v4, s[0:1], -1, v1
	v_addc_co_u32_e64 v5, s[0:1], 0, -1, s[0:1]
	v_cmp_ne_u32_e64 s[0:1], 0, v1
	v_xor_b32_e32 v1, s1, v5
	v_mov_b32_e32 v0, 0
	v_and_b32_e32 v5, exec_hi, v1
	v_lshlrev_b32_e32 v1, 30, v15
	v_xor_b32_e32 v4, s0, v4
	v_cmp_gt_i64_e64 s[0:1], 0, v[0:1]
	v_not_b32_e32 v1, v1
	v_ashrrev_i32_e32 v1, 31, v1
	v_and_b32_e32 v4, exec_lo, v4
	v_xor_b32_e32 v16, s1, v1
	v_xor_b32_e32 v1, s0, v1
	v_and_b32_e32 v4, v4, v1
	v_lshlrev_b32_e32 v1, 29, v15
	v_cmp_gt_i64_e64 s[0:1], 0, v[0:1]
	v_not_b32_e32 v1, v1
	v_ashrrev_i32_e32 v1, 31, v1
	v_and_b32_e32 v5, v5, v16
	v_xor_b32_e32 v16, s1, v1
	v_xor_b32_e32 v1, s0, v1
	v_and_b32_e32 v4, v4, v1
	v_lshlrev_b32_e32 v1, 28, v15
	v_cmp_gt_i64_e64 s[0:1], 0, v[0:1]
	v_not_b32_e32 v1, v1
	v_ashrrev_i32_e32 v1, 31, v1
	v_and_b32_e32 v5, v5, v16
	;; [unrolled: 8-line block ×5, first 2 shown]
	v_xor_b32_e32 v16, s1, v1
	v_xor_b32_e32 v1, s0, v1
	v_and_b32_e32 v4, v4, v1
	v_lshlrev_b32_e32 v1, 24, v15
	v_cmp_gt_i64_e64 s[0:1], 0, v[0:1]
	v_not_b32_e32 v1, v1
	v_ashrrev_i32_e32 v1, 31, v1
	v_xor_b32_e32 v17, s0, v1
	v_and_b32_e32 v5, v5, v16
	v_xor_b32_e32 v16, s1, v1
	v_and_b32_e32 v4, v4, v17
	v_and_b32_e32 v1, v5, v16
	v_mbcnt_lo_u32_b32 v5, v4, 0
	v_mbcnt_hi_u32_b32 v5, v1, v5
	v_cmp_eq_u32_e64 s[0:1], 0, v5
	s_and_saveexec_b64 s[4:5], s[0:1]
	s_cbranch_execz .LBB19_14
; %bb.13:
	v_bcnt_u32_b32 v4, v4, 0
	v_lshlrev_b32_e32 v5, 2, v15
	v_bcnt_u32_b32 v1, v1, v4
	ds_add_u32 v5, v1
.LBB19_14:
	s_or_b64 exec, exec, s[4:5]
	s_waitcnt vmcnt(8)
	v_and_b32_e32 v1, 1, v14
	v_add_co_u32_e64 v4, s[0:1], -1, v1
	v_addc_co_u32_e64 v5, s[0:1], 0, -1, s[0:1]
	v_cmp_ne_u32_e64 s[0:1], 0, v1
	v_xor_b32_e32 v1, s1, v5
	v_and_b32_e32 v5, exec_hi, v1
	v_lshlrev_b32_e32 v1, 30, v14
	v_xor_b32_e32 v4, s0, v4
	v_cmp_gt_i64_e64 s[0:1], 0, v[0:1]
	v_not_b32_e32 v1, v1
	v_ashrrev_i32_e32 v1, 31, v1
	v_and_b32_e32 v4, exec_lo, v4
	v_xor_b32_e32 v15, s1, v1
	v_xor_b32_e32 v1, s0, v1
	v_and_b32_e32 v4, v4, v1
	v_lshlrev_b32_e32 v1, 29, v14
	v_cmp_gt_i64_e64 s[0:1], 0, v[0:1]
	v_not_b32_e32 v1, v1
	v_ashrrev_i32_e32 v1, 31, v1
	v_and_b32_e32 v5, v5, v15
	v_xor_b32_e32 v15, s1, v1
	v_xor_b32_e32 v1, s0, v1
	v_and_b32_e32 v4, v4, v1
	v_lshlrev_b32_e32 v1, 28, v14
	v_cmp_gt_i64_e64 s[0:1], 0, v[0:1]
	v_not_b32_e32 v1, v1
	v_ashrrev_i32_e32 v1, 31, v1
	v_and_b32_e32 v5, v5, v15
	;; [unrolled: 8-line block ×5, first 2 shown]
	v_xor_b32_e32 v15, s1, v1
	v_xor_b32_e32 v1, s0, v1
	v_and_b32_e32 v4, v4, v1
	v_lshlrev_b32_e32 v1, 24, v14
	v_cmp_gt_i64_e64 s[0:1], 0, v[0:1]
	v_not_b32_e32 v0, v1
	v_ashrrev_i32_e32 v0, 31, v0
	v_xor_b32_e32 v1, s1, v0
	v_xor_b32_e32 v0, s0, v0
	v_and_b32_e32 v5, v5, v15
	v_and_b32_e32 v0, v4, v0
	;; [unrolled: 1-line block ×3, first 2 shown]
	v_mbcnt_lo_u32_b32 v4, v0, 0
	v_mbcnt_hi_u32_b32 v4, v1, v4
	v_cmp_eq_u32_e64 s[0:1], 0, v4
	s_and_saveexec_b64 s[4:5], s[0:1]
	s_cbranch_execz .LBB19_16
; %bb.15:
	v_bcnt_u32_b32 v0, v0, 0
	v_lshlrev_b32_e32 v4, 2, v14
	v_bcnt_u32_b32 v0, v1, v0
	ds_add_u32 v4, v0
.LBB19_16:
	s_or_b64 exec, exec, s[4:5]
	s_waitcnt vmcnt(7)
	v_and_b32_e32 v1, 1, v13
	v_add_co_u32_e64 v4, s[0:1], -1, v1
	v_addc_co_u32_e64 v5, s[0:1], 0, -1, s[0:1]
	v_cmp_ne_u32_e64 s[0:1], 0, v1
	v_xor_b32_e32 v1, s1, v5
	v_mov_b32_e32 v0, 0
	v_and_b32_e32 v5, exec_hi, v1
	v_lshlrev_b32_e32 v1, 30, v13
	v_xor_b32_e32 v4, s0, v4
	v_cmp_gt_i64_e64 s[0:1], 0, v[0:1]
	v_not_b32_e32 v1, v1
	v_ashrrev_i32_e32 v1, 31, v1
	v_and_b32_e32 v4, exec_lo, v4
	v_xor_b32_e32 v14, s1, v1
	v_xor_b32_e32 v1, s0, v1
	v_and_b32_e32 v4, v4, v1
	v_lshlrev_b32_e32 v1, 29, v13
	v_cmp_gt_i64_e64 s[0:1], 0, v[0:1]
	v_not_b32_e32 v1, v1
	v_ashrrev_i32_e32 v1, 31, v1
	v_and_b32_e32 v5, v5, v14
	v_xor_b32_e32 v14, s1, v1
	v_xor_b32_e32 v1, s0, v1
	v_and_b32_e32 v4, v4, v1
	v_lshlrev_b32_e32 v1, 28, v13
	v_cmp_gt_i64_e64 s[0:1], 0, v[0:1]
	v_not_b32_e32 v1, v1
	v_ashrrev_i32_e32 v1, 31, v1
	v_and_b32_e32 v5, v5, v14
	;; [unrolled: 8-line block ×5, first 2 shown]
	v_xor_b32_e32 v14, s1, v1
	v_xor_b32_e32 v1, s0, v1
	v_and_b32_e32 v4, v4, v1
	v_lshlrev_b32_e32 v1, 24, v13
	v_cmp_gt_i64_e64 s[0:1], 0, v[0:1]
	v_not_b32_e32 v1, v1
	v_ashrrev_i32_e32 v1, 31, v1
	v_xor_b32_e32 v15, s0, v1
	v_and_b32_e32 v5, v5, v14
	v_xor_b32_e32 v14, s1, v1
	v_and_b32_e32 v4, v4, v15
	v_and_b32_e32 v1, v5, v14
	v_mbcnt_lo_u32_b32 v5, v4, 0
	v_mbcnt_hi_u32_b32 v5, v1, v5
	v_cmp_eq_u32_e64 s[0:1], 0, v5
	s_and_saveexec_b64 s[4:5], s[0:1]
	s_cbranch_execz .LBB19_18
; %bb.17:
	v_bcnt_u32_b32 v4, v4, 0
	v_lshlrev_b32_e32 v5, 2, v13
	v_bcnt_u32_b32 v1, v1, v4
	ds_add_u32 v5, v1
.LBB19_18:
	s_or_b64 exec, exec, s[4:5]
	s_waitcnt vmcnt(6)
	v_and_b32_e32 v1, 1, v12
	v_add_co_u32_e64 v4, s[0:1], -1, v1
	v_addc_co_u32_e64 v5, s[0:1], 0, -1, s[0:1]
	v_cmp_ne_u32_e64 s[0:1], 0, v1
	v_xor_b32_e32 v1, s1, v5
	v_and_b32_e32 v5, exec_hi, v1
	v_lshlrev_b32_e32 v1, 30, v12
	v_xor_b32_e32 v4, s0, v4
	v_cmp_gt_i64_e64 s[0:1], 0, v[0:1]
	v_not_b32_e32 v1, v1
	v_ashrrev_i32_e32 v1, 31, v1
	v_and_b32_e32 v4, exec_lo, v4
	v_xor_b32_e32 v13, s1, v1
	v_xor_b32_e32 v1, s0, v1
	v_and_b32_e32 v4, v4, v1
	v_lshlrev_b32_e32 v1, 29, v12
	v_cmp_gt_i64_e64 s[0:1], 0, v[0:1]
	v_not_b32_e32 v1, v1
	v_ashrrev_i32_e32 v1, 31, v1
	v_and_b32_e32 v5, v5, v13
	v_xor_b32_e32 v13, s1, v1
	v_xor_b32_e32 v1, s0, v1
	v_and_b32_e32 v4, v4, v1
	v_lshlrev_b32_e32 v1, 28, v12
	v_cmp_gt_i64_e64 s[0:1], 0, v[0:1]
	v_not_b32_e32 v1, v1
	v_ashrrev_i32_e32 v1, 31, v1
	v_and_b32_e32 v5, v5, v13
	;; [unrolled: 8-line block ×5, first 2 shown]
	v_xor_b32_e32 v13, s1, v1
	v_xor_b32_e32 v1, s0, v1
	v_and_b32_e32 v4, v4, v1
	v_lshlrev_b32_e32 v1, 24, v12
	v_cmp_gt_i64_e64 s[0:1], 0, v[0:1]
	v_not_b32_e32 v0, v1
	v_ashrrev_i32_e32 v0, 31, v0
	v_xor_b32_e32 v1, s1, v0
	v_xor_b32_e32 v0, s0, v0
	v_and_b32_e32 v5, v5, v13
	v_and_b32_e32 v0, v4, v0
	;; [unrolled: 1-line block ×3, first 2 shown]
	v_mbcnt_lo_u32_b32 v4, v0, 0
	v_mbcnt_hi_u32_b32 v4, v1, v4
	v_cmp_eq_u32_e64 s[0:1], 0, v4
	s_and_saveexec_b64 s[4:5], s[0:1]
	s_cbranch_execz .LBB19_20
; %bb.19:
	v_bcnt_u32_b32 v0, v0, 0
	v_lshlrev_b32_e32 v4, 2, v12
	v_bcnt_u32_b32 v0, v1, v0
	ds_add_u32 v4, v0
.LBB19_20:
	s_or_b64 exec, exec, s[4:5]
	s_waitcnt vmcnt(5)
	v_and_b32_e32 v1, 1, v11
	v_add_co_u32_e64 v4, s[0:1], -1, v1
	v_addc_co_u32_e64 v5, s[0:1], 0, -1, s[0:1]
	v_cmp_ne_u32_e64 s[0:1], 0, v1
	v_xor_b32_e32 v1, s1, v5
	v_mov_b32_e32 v0, 0
	v_and_b32_e32 v5, exec_hi, v1
	v_lshlrev_b32_e32 v1, 30, v11
	v_xor_b32_e32 v4, s0, v4
	v_cmp_gt_i64_e64 s[0:1], 0, v[0:1]
	v_not_b32_e32 v1, v1
	v_ashrrev_i32_e32 v1, 31, v1
	v_and_b32_e32 v4, exec_lo, v4
	v_xor_b32_e32 v12, s1, v1
	v_xor_b32_e32 v1, s0, v1
	v_and_b32_e32 v4, v4, v1
	v_lshlrev_b32_e32 v1, 29, v11
	v_cmp_gt_i64_e64 s[0:1], 0, v[0:1]
	v_not_b32_e32 v1, v1
	v_ashrrev_i32_e32 v1, 31, v1
	v_and_b32_e32 v5, v5, v12
	v_xor_b32_e32 v12, s1, v1
	v_xor_b32_e32 v1, s0, v1
	v_and_b32_e32 v4, v4, v1
	v_lshlrev_b32_e32 v1, 28, v11
	v_cmp_gt_i64_e64 s[0:1], 0, v[0:1]
	v_not_b32_e32 v1, v1
	v_ashrrev_i32_e32 v1, 31, v1
	v_and_b32_e32 v5, v5, v12
	;; [unrolled: 8-line block ×5, first 2 shown]
	v_xor_b32_e32 v12, s1, v1
	v_xor_b32_e32 v1, s0, v1
	v_and_b32_e32 v4, v4, v1
	v_lshlrev_b32_e32 v1, 24, v11
	v_cmp_gt_i64_e64 s[0:1], 0, v[0:1]
	v_not_b32_e32 v1, v1
	v_ashrrev_i32_e32 v1, 31, v1
	v_xor_b32_e32 v13, s0, v1
	v_and_b32_e32 v5, v5, v12
	v_xor_b32_e32 v12, s1, v1
	v_and_b32_e32 v4, v4, v13
	v_and_b32_e32 v1, v5, v12
	v_mbcnt_lo_u32_b32 v5, v4, 0
	v_mbcnt_hi_u32_b32 v5, v1, v5
	v_cmp_eq_u32_e64 s[0:1], 0, v5
	s_and_saveexec_b64 s[4:5], s[0:1]
	s_cbranch_execz .LBB19_22
; %bb.21:
	v_bcnt_u32_b32 v4, v4, 0
	v_lshlrev_b32_e32 v5, 2, v11
	v_bcnt_u32_b32 v1, v1, v4
	ds_add_u32 v5, v1
.LBB19_22:
	s_or_b64 exec, exec, s[4:5]
	s_waitcnt vmcnt(4)
	v_and_b32_e32 v1, 1, v10
	v_add_co_u32_e64 v4, s[0:1], -1, v1
	v_addc_co_u32_e64 v5, s[0:1], 0, -1, s[0:1]
	v_cmp_ne_u32_e64 s[0:1], 0, v1
	v_xor_b32_e32 v1, s1, v5
	v_and_b32_e32 v5, exec_hi, v1
	v_lshlrev_b32_e32 v1, 30, v10
	v_xor_b32_e32 v4, s0, v4
	v_cmp_gt_i64_e64 s[0:1], 0, v[0:1]
	v_not_b32_e32 v1, v1
	v_ashrrev_i32_e32 v1, 31, v1
	v_and_b32_e32 v4, exec_lo, v4
	v_xor_b32_e32 v11, s1, v1
	v_xor_b32_e32 v1, s0, v1
	v_and_b32_e32 v4, v4, v1
	v_lshlrev_b32_e32 v1, 29, v10
	v_cmp_gt_i64_e64 s[0:1], 0, v[0:1]
	v_not_b32_e32 v1, v1
	v_ashrrev_i32_e32 v1, 31, v1
	v_and_b32_e32 v5, v5, v11
	v_xor_b32_e32 v11, s1, v1
	v_xor_b32_e32 v1, s0, v1
	v_and_b32_e32 v4, v4, v1
	v_lshlrev_b32_e32 v1, 28, v10
	v_cmp_gt_i64_e64 s[0:1], 0, v[0:1]
	v_not_b32_e32 v1, v1
	v_ashrrev_i32_e32 v1, 31, v1
	v_and_b32_e32 v5, v5, v11
	;; [unrolled: 8-line block ×5, first 2 shown]
	v_xor_b32_e32 v11, s1, v1
	v_xor_b32_e32 v1, s0, v1
	v_and_b32_e32 v4, v4, v1
	v_lshlrev_b32_e32 v1, 24, v10
	v_cmp_gt_i64_e64 s[0:1], 0, v[0:1]
	v_not_b32_e32 v0, v1
	v_ashrrev_i32_e32 v0, 31, v0
	v_xor_b32_e32 v1, s1, v0
	v_xor_b32_e32 v0, s0, v0
	v_and_b32_e32 v5, v5, v11
	v_and_b32_e32 v0, v4, v0
	;; [unrolled: 1-line block ×3, first 2 shown]
	v_mbcnt_lo_u32_b32 v4, v0, 0
	v_mbcnt_hi_u32_b32 v4, v1, v4
	v_cmp_eq_u32_e64 s[0:1], 0, v4
	s_and_saveexec_b64 s[4:5], s[0:1]
	s_cbranch_execz .LBB19_24
; %bb.23:
	v_bcnt_u32_b32 v0, v0, 0
	v_lshlrev_b32_e32 v4, 2, v10
	v_bcnt_u32_b32 v0, v1, v0
	ds_add_u32 v4, v0
.LBB19_24:
	s_or_b64 exec, exec, s[4:5]
	s_waitcnt vmcnt(3)
	v_and_b32_e32 v1, 1, v9
	v_add_co_u32_e64 v4, s[0:1], -1, v1
	v_addc_co_u32_e64 v5, s[0:1], 0, -1, s[0:1]
	v_cmp_ne_u32_e64 s[0:1], 0, v1
	v_xor_b32_e32 v1, s1, v5
	v_mov_b32_e32 v0, 0
	v_and_b32_e32 v5, exec_hi, v1
	v_lshlrev_b32_e32 v1, 30, v9
	v_xor_b32_e32 v4, s0, v4
	v_cmp_gt_i64_e64 s[0:1], 0, v[0:1]
	v_not_b32_e32 v1, v1
	v_ashrrev_i32_e32 v1, 31, v1
	v_and_b32_e32 v4, exec_lo, v4
	v_xor_b32_e32 v10, s1, v1
	v_xor_b32_e32 v1, s0, v1
	v_and_b32_e32 v4, v4, v1
	v_lshlrev_b32_e32 v1, 29, v9
	v_cmp_gt_i64_e64 s[0:1], 0, v[0:1]
	v_not_b32_e32 v1, v1
	v_ashrrev_i32_e32 v1, 31, v1
	v_and_b32_e32 v5, v5, v10
	v_xor_b32_e32 v10, s1, v1
	v_xor_b32_e32 v1, s0, v1
	v_and_b32_e32 v4, v4, v1
	v_lshlrev_b32_e32 v1, 28, v9
	v_cmp_gt_i64_e64 s[0:1], 0, v[0:1]
	v_not_b32_e32 v1, v1
	v_ashrrev_i32_e32 v1, 31, v1
	v_and_b32_e32 v5, v5, v10
	;; [unrolled: 8-line block ×5, first 2 shown]
	v_xor_b32_e32 v10, s1, v1
	v_xor_b32_e32 v1, s0, v1
	v_and_b32_e32 v4, v4, v1
	v_lshlrev_b32_e32 v1, 24, v9
	v_cmp_gt_i64_e64 s[0:1], 0, v[0:1]
	v_not_b32_e32 v1, v1
	v_ashrrev_i32_e32 v1, 31, v1
	v_xor_b32_e32 v11, s0, v1
	v_and_b32_e32 v5, v5, v10
	v_xor_b32_e32 v10, s1, v1
	v_and_b32_e32 v4, v4, v11
	v_and_b32_e32 v1, v5, v10
	v_mbcnt_lo_u32_b32 v5, v4, 0
	v_mbcnt_hi_u32_b32 v5, v1, v5
	v_cmp_eq_u32_e64 s[0:1], 0, v5
	s_and_saveexec_b64 s[4:5], s[0:1]
	s_cbranch_execz .LBB19_26
; %bb.25:
	v_bcnt_u32_b32 v4, v4, 0
	v_lshlrev_b32_e32 v5, 2, v9
	v_bcnt_u32_b32 v1, v1, v4
	ds_add_u32 v5, v1
.LBB19_26:
	s_or_b64 exec, exec, s[4:5]
	s_waitcnt vmcnt(2)
	v_and_b32_e32 v1, 1, v8
	v_add_co_u32_e64 v4, s[0:1], -1, v1
	v_addc_co_u32_e64 v5, s[0:1], 0, -1, s[0:1]
	v_cmp_ne_u32_e64 s[0:1], 0, v1
	v_xor_b32_e32 v1, s1, v5
	v_and_b32_e32 v5, exec_hi, v1
	v_lshlrev_b32_e32 v1, 30, v8
	v_xor_b32_e32 v4, s0, v4
	v_cmp_gt_i64_e64 s[0:1], 0, v[0:1]
	v_not_b32_e32 v1, v1
	v_ashrrev_i32_e32 v1, 31, v1
	v_and_b32_e32 v4, exec_lo, v4
	v_xor_b32_e32 v9, s1, v1
	v_xor_b32_e32 v1, s0, v1
	v_and_b32_e32 v4, v4, v1
	v_lshlrev_b32_e32 v1, 29, v8
	v_cmp_gt_i64_e64 s[0:1], 0, v[0:1]
	v_not_b32_e32 v1, v1
	v_ashrrev_i32_e32 v1, 31, v1
	v_and_b32_e32 v5, v5, v9
	v_xor_b32_e32 v9, s1, v1
	v_xor_b32_e32 v1, s0, v1
	v_and_b32_e32 v4, v4, v1
	v_lshlrev_b32_e32 v1, 28, v8
	v_cmp_gt_i64_e64 s[0:1], 0, v[0:1]
	v_not_b32_e32 v1, v1
	v_ashrrev_i32_e32 v1, 31, v1
	v_and_b32_e32 v5, v5, v9
	;; [unrolled: 8-line block ×5, first 2 shown]
	v_xor_b32_e32 v9, s1, v1
	v_xor_b32_e32 v1, s0, v1
	v_and_b32_e32 v4, v4, v1
	v_lshlrev_b32_e32 v1, 24, v8
	v_cmp_gt_i64_e64 s[0:1], 0, v[0:1]
	v_not_b32_e32 v0, v1
	v_ashrrev_i32_e32 v0, 31, v0
	v_xor_b32_e32 v1, s1, v0
	v_xor_b32_e32 v0, s0, v0
	v_and_b32_e32 v5, v5, v9
	v_and_b32_e32 v0, v4, v0
	;; [unrolled: 1-line block ×3, first 2 shown]
	v_mbcnt_lo_u32_b32 v4, v0, 0
	v_mbcnt_hi_u32_b32 v4, v1, v4
	v_cmp_eq_u32_e64 s[0:1], 0, v4
	s_and_saveexec_b64 s[4:5], s[0:1]
	s_cbranch_execz .LBB19_28
; %bb.27:
	v_bcnt_u32_b32 v0, v0, 0
	v_lshlrev_b32_e32 v4, 2, v8
	v_bcnt_u32_b32 v0, v1, v0
	ds_add_u32 v4, v0
.LBB19_28:
	s_or_b64 exec, exec, s[4:5]
	s_waitcnt vmcnt(1)
	v_and_b32_e32 v1, 1, v7
	v_add_co_u32_e64 v4, s[0:1], -1, v1
	v_addc_co_u32_e64 v5, s[0:1], 0, -1, s[0:1]
	v_cmp_ne_u32_e64 s[0:1], 0, v1
	v_xor_b32_e32 v1, s1, v5
	v_mov_b32_e32 v0, 0
	v_and_b32_e32 v5, exec_hi, v1
	v_lshlrev_b32_e32 v1, 30, v7
	v_xor_b32_e32 v4, s0, v4
	v_cmp_gt_i64_e64 s[0:1], 0, v[0:1]
	v_not_b32_e32 v1, v1
	v_ashrrev_i32_e32 v1, 31, v1
	v_and_b32_e32 v4, exec_lo, v4
	v_xor_b32_e32 v8, s1, v1
	v_xor_b32_e32 v1, s0, v1
	v_and_b32_e32 v4, v4, v1
	v_lshlrev_b32_e32 v1, 29, v7
	v_cmp_gt_i64_e64 s[0:1], 0, v[0:1]
	v_not_b32_e32 v1, v1
	v_ashrrev_i32_e32 v1, 31, v1
	v_and_b32_e32 v5, v5, v8
	v_xor_b32_e32 v8, s1, v1
	v_xor_b32_e32 v1, s0, v1
	v_and_b32_e32 v4, v4, v1
	v_lshlrev_b32_e32 v1, 28, v7
	v_cmp_gt_i64_e64 s[0:1], 0, v[0:1]
	v_not_b32_e32 v1, v1
	v_ashrrev_i32_e32 v1, 31, v1
	v_and_b32_e32 v5, v5, v8
	;; [unrolled: 8-line block ×5, first 2 shown]
	v_xor_b32_e32 v8, s1, v1
	v_xor_b32_e32 v1, s0, v1
	v_and_b32_e32 v4, v4, v1
	v_lshlrev_b32_e32 v1, 24, v7
	v_cmp_gt_i64_e64 s[0:1], 0, v[0:1]
	v_not_b32_e32 v1, v1
	v_ashrrev_i32_e32 v1, 31, v1
	v_xor_b32_e32 v9, s0, v1
	v_and_b32_e32 v5, v5, v8
	v_xor_b32_e32 v8, s1, v1
	v_and_b32_e32 v4, v4, v9
	v_and_b32_e32 v1, v5, v8
	v_mbcnt_lo_u32_b32 v5, v4, 0
	v_mbcnt_hi_u32_b32 v5, v1, v5
	v_cmp_eq_u32_e64 s[0:1], 0, v5
	s_and_saveexec_b64 s[4:5], s[0:1]
	s_cbranch_execz .LBB19_30
; %bb.29:
	v_bcnt_u32_b32 v4, v4, 0
	v_lshlrev_b32_e32 v5, 2, v7
	v_bcnt_u32_b32 v1, v1, v4
	ds_add_u32 v5, v1
.LBB19_30:
	s_or_b64 exec, exec, s[4:5]
	s_waitcnt vmcnt(0)
	v_and_b32_e32 v1, 1, v3
	v_add_co_u32_e64 v4, s[0:1], -1, v1
	v_addc_co_u32_e64 v5, s[0:1], 0, -1, s[0:1]
	v_cmp_ne_u32_e64 s[0:1], 0, v1
	v_xor_b32_e32 v1, s1, v5
	v_and_b32_e32 v5, exec_hi, v1
	v_lshlrev_b32_e32 v1, 30, v3
	v_xor_b32_e32 v4, s0, v4
	v_cmp_gt_i64_e64 s[0:1], 0, v[0:1]
	v_not_b32_e32 v1, v1
	v_ashrrev_i32_e32 v1, 31, v1
	v_and_b32_e32 v4, exec_lo, v4
	v_xor_b32_e32 v7, s1, v1
	v_xor_b32_e32 v1, s0, v1
	v_and_b32_e32 v4, v4, v1
	v_lshlrev_b32_e32 v1, 29, v3
	v_cmp_gt_i64_e64 s[0:1], 0, v[0:1]
	v_not_b32_e32 v1, v1
	v_ashrrev_i32_e32 v1, 31, v1
	v_and_b32_e32 v5, v5, v7
	v_xor_b32_e32 v7, s1, v1
	v_xor_b32_e32 v1, s0, v1
	v_and_b32_e32 v4, v4, v1
	v_lshlrev_b32_e32 v1, 28, v3
	v_cmp_gt_i64_e64 s[0:1], 0, v[0:1]
	v_not_b32_e32 v1, v1
	v_ashrrev_i32_e32 v1, 31, v1
	v_and_b32_e32 v5, v5, v7
	;; [unrolled: 8-line block ×5, first 2 shown]
	v_xor_b32_e32 v7, s1, v1
	v_xor_b32_e32 v1, s0, v1
	v_and_b32_e32 v4, v4, v1
	v_lshlrev_b32_e32 v1, 24, v3
	v_cmp_gt_i64_e64 s[0:1], 0, v[0:1]
	v_not_b32_e32 v0, v1
	v_ashrrev_i32_e32 v0, 31, v0
	v_xor_b32_e32 v1, s1, v0
	v_xor_b32_e32 v0, s0, v0
	v_and_b32_e32 v5, v5, v7
	v_and_b32_e32 v0, v4, v0
	;; [unrolled: 1-line block ×3, first 2 shown]
	v_mbcnt_lo_u32_b32 v4, v0, 0
	v_mbcnt_hi_u32_b32 v4, v1, v4
	v_cmp_eq_u32_e64 s[0:1], 0, v4
	s_and_saveexec_b64 s[4:5], s[0:1]
	s_cbranch_execz .LBB19_32
; %bb.31:
	v_bcnt_u32_b32 v0, v0, 0
	v_lshlrev_b32_e32 v3, 2, v3
	v_bcnt_u32_b32 v0, v1, v0
	ds_add_u32 v3, v0
.LBB19_32:
	s_or_b64 exec, exec, s[4:5]
	s_waitcnt lgkmcnt(0)
	s_barrier
	s_barrier
	s_and_saveexec_b64 s[0:1], vcc
	s_cbranch_execz .LBB19_34
; %bb.33:
	v_mov_b32_e32 v3, 0
	v_lshlrev_b64 v[0:1], 2, v[2:3]
	ds_read_b32 v3, v6
	v_mov_b32_e32 v2, s3
	v_add_co_u32_e32 v0, vcc, s2, v0
	v_addc_co_u32_e32 v1, vcc, v2, v1, vcc
	s_waitcnt lgkmcnt(0)
	global_store_dword v[0:1], v3, off
.LBB19_34:
	s_endpgm
	.section	.rodata,"a",@progbits
	.p2align	6, 0x0
	.amdhsa_kernel _Z16histogram_kernelILj255ELj15ELj255ELN6hipcub23BlockHistogramAlgorithmE0EjEvPT3_S3_
		.amdhsa_group_segment_fixed_size 1020
		.amdhsa_private_segment_fixed_size 0
		.amdhsa_kernarg_size 16
		.amdhsa_user_sgpr_count 6
		.amdhsa_user_sgpr_private_segment_buffer 1
		.amdhsa_user_sgpr_dispatch_ptr 0
		.amdhsa_user_sgpr_queue_ptr 0
		.amdhsa_user_sgpr_kernarg_segment_ptr 1
		.amdhsa_user_sgpr_dispatch_id 0
		.amdhsa_user_sgpr_flat_scratch_init 0
		.amdhsa_user_sgpr_kernarg_preload_length 0
		.amdhsa_user_sgpr_kernarg_preload_offset 0
		.amdhsa_user_sgpr_private_segment_size 0
		.amdhsa_uses_dynamic_stack 0
		.amdhsa_system_sgpr_private_segment_wavefront_offset 0
		.amdhsa_system_sgpr_workgroup_id_x 1
		.amdhsa_system_sgpr_workgroup_id_y 0
		.amdhsa_system_sgpr_workgroup_id_z 0
		.amdhsa_system_sgpr_workgroup_info 0
		.amdhsa_system_vgpr_workitem_id 0
		.amdhsa_next_free_vgpr 36
		.amdhsa_next_free_sgpr 7
		.amdhsa_accum_offset 36
		.amdhsa_reserve_vcc 1
		.amdhsa_reserve_flat_scratch 0
		.amdhsa_float_round_mode_32 0
		.amdhsa_float_round_mode_16_64 0
		.amdhsa_float_denorm_mode_32 3
		.amdhsa_float_denorm_mode_16_64 3
		.amdhsa_dx10_clamp 1
		.amdhsa_ieee_mode 1
		.amdhsa_fp16_overflow 0
		.amdhsa_tg_split 0
		.amdhsa_exception_fp_ieee_invalid_op 0
		.amdhsa_exception_fp_denorm_src 0
		.amdhsa_exception_fp_ieee_div_zero 0
		.amdhsa_exception_fp_ieee_overflow 0
		.amdhsa_exception_fp_ieee_underflow 0
		.amdhsa_exception_fp_ieee_inexact 0
		.amdhsa_exception_int_div_zero 0
	.end_amdhsa_kernel
	.section	.text._Z16histogram_kernelILj255ELj15ELj255ELN6hipcub23BlockHistogramAlgorithmE0EjEvPT3_S3_,"axG",@progbits,_Z16histogram_kernelILj255ELj15ELj255ELN6hipcub23BlockHistogramAlgorithmE0EjEvPT3_S3_,comdat
.Lfunc_end19:
	.size	_Z16histogram_kernelILj255ELj15ELj255ELN6hipcub23BlockHistogramAlgorithmE0EjEvPT3_S3_, .Lfunc_end19-_Z16histogram_kernelILj255ELj15ELj255ELN6hipcub23BlockHistogramAlgorithmE0EjEvPT3_S3_
                                        ; -- End function
	.section	.AMDGPU.csdata,"",@progbits
; Kernel info:
; codeLenInByte = 6104
; NumSgprs: 11
; NumVgprs: 36
; NumAgprs: 0
; TotalNumVgprs: 36
; ScratchSize: 0
; MemoryBound: 0
; FloatMode: 240
; IeeeMode: 1
; LDSByteSize: 1020 bytes/workgroup (compile time only)
; SGPRBlocks: 1
; VGPRBlocks: 4
; NumSGPRsForWavesPerEU: 11
; NumVGPRsForWavesPerEU: 36
; AccumOffset: 36
; Occupancy: 8
; WaveLimiterHint : 0
; COMPUTE_PGM_RSRC2:SCRATCH_EN: 0
; COMPUTE_PGM_RSRC2:USER_SGPR: 6
; COMPUTE_PGM_RSRC2:TRAP_HANDLER: 0
; COMPUTE_PGM_RSRC2:TGID_X_EN: 1
; COMPUTE_PGM_RSRC2:TGID_Y_EN: 0
; COMPUTE_PGM_RSRC2:TGID_Z_EN: 0
; COMPUTE_PGM_RSRC2:TIDIG_COMP_CNT: 0
; COMPUTE_PGM_RSRC3_GFX90A:ACCUM_OFFSET: 8
; COMPUTE_PGM_RSRC3_GFX90A:TG_SPLIT: 0
	.section	.text._Z16histogram_kernelILj162ELj7ELj162ELN6hipcub23BlockHistogramAlgorithmE0EjEvPT3_S3_,"axG",@progbits,_Z16histogram_kernelILj162ELj7ELj162ELN6hipcub23BlockHistogramAlgorithmE0EjEvPT3_S3_,comdat
	.protected	_Z16histogram_kernelILj162ELj7ELj162ELN6hipcub23BlockHistogramAlgorithmE0EjEvPT3_S3_ ; -- Begin function _Z16histogram_kernelILj162ELj7ELj162ELN6hipcub23BlockHistogramAlgorithmE0EjEvPT3_S3_
	.globl	_Z16histogram_kernelILj162ELj7ELj162ELN6hipcub23BlockHistogramAlgorithmE0EjEvPT3_S3_
	.p2align	8
	.type	_Z16histogram_kernelILj162ELj7ELj162ELN6hipcub23BlockHistogramAlgorithmE0EjEvPT3_S3_,@function
_Z16histogram_kernelILj162ELj7ELj162ELN6hipcub23BlockHistogramAlgorithmE0EjEvPT3_S3_: ; @_Z16histogram_kernelILj162ELj7ELj162ELN6hipcub23BlockHistogramAlgorithmE0EjEvPT3_S3_
; %bb.0:
	s_load_dwordx4 s[0:3], s[4:5], 0x0
	s_mulk_i32 s6, 0xa2
	v_add_u32_e32 v2, s6, v0
	v_mov_b32_e32 v4, 0
	v_mul_lo_u32 v6, v2, 7
	v_mov_b32_e32 v7, v4
	v_lshlrev_b64 v[8:9], 2, v[6:7]
	s_waitcnt lgkmcnt(0)
	v_mov_b32_e32 v1, s1
	v_add_co_u32_e32 v14, vcc, s0, v8
	v_addc_co_u32_e32 v15, vcc, v1, v9, vcc
	v_add_u32_e32 v8, 1, v6
	v_mov_b32_e32 v9, v4
	v_lshlrev_b64 v[8:9], 2, v[8:9]
	v_add_co_u32_e32 v16, vcc, s0, v8
	v_addc_co_u32_e32 v17, vcc, v1, v9, vcc
	v_add_u32_e32 v8, 2, v6
	v_mov_b32_e32 v9, v4
	v_lshlrev_b64 v[8:9], 2, v[8:9]
	;; [unrolled: 5-line block ×5, first 2 shown]
	v_add_co_u32_e32 v24, vcc, s0, v8
	v_add_u32_e32 v6, 6, v6
	v_addc_co_u32_e32 v25, vcc, v1, v9, vcc
	v_lshlrev_b64 v[6:7], 2, v[6:7]
	v_add_co_u32_e32 v26, vcc, s0, v6
	v_addc_co_u32_e32 v27, vcc, v1, v7, vcc
	global_load_dword v12, v[14:15], off
	global_load_dword v11, v[16:17], off
	global_load_dword v10, v[18:19], off
	global_load_dword v9, v[20:21], off
	global_load_dword v8, v[22:23], off
	global_load_dword v7, v[24:25], off
	global_load_dword v3, v[26:27], off
	s_movk_i32 s0, 0xa2
	v_cmp_gt_u32_e32 vcc, s0, v0
	v_lshlrev_b32_e32 v6, 2, v0
	s_and_saveexec_b64 s[0:1], vcc
	s_cbranch_execz .LBB20_2
; %bb.1:
	ds_write_b32 v6, v4
.LBB20_2:
	s_or_b64 exec, exec, s[0:1]
	s_waitcnt vmcnt(6)
	v_and_b32_e32 v0, 1, v12
	v_add_co_u32_e64 v1, s[0:1], -1, v0
	v_addc_co_u32_e64 v5, s[0:1], 0, -1, s[0:1]
	v_cmp_ne_u32_e64 s[0:1], 0, v0
	v_xor_b32_e32 v0, s1, v5
	v_lshlrev_b32_e32 v5, 30, v12
	v_xor_b32_e32 v1, s0, v1
	v_cmp_gt_i64_e64 s[0:1], 0, v[4:5]
	v_not_b32_e32 v5, v5
	v_ashrrev_i32_e32 v5, 31, v5
	v_and_b32_e32 v1, exec_lo, v1
	v_xor_b32_e32 v13, s1, v5
	v_xor_b32_e32 v5, s0, v5
	v_and_b32_e32 v1, v1, v5
	v_lshlrev_b32_e32 v5, 29, v12
	v_cmp_gt_i64_e64 s[0:1], 0, v[4:5]
	v_not_b32_e32 v5, v5
	v_and_b32_e32 v0, exec_hi, v0
	v_ashrrev_i32_e32 v5, 31, v5
	v_and_b32_e32 v0, v0, v13
	v_xor_b32_e32 v13, s1, v5
	v_xor_b32_e32 v5, s0, v5
	v_and_b32_e32 v1, v1, v5
	v_lshlrev_b32_e32 v5, 28, v12
	v_cmp_gt_i64_e64 s[0:1], 0, v[4:5]
	v_not_b32_e32 v5, v5
	v_ashrrev_i32_e32 v5, 31, v5
	v_and_b32_e32 v0, v0, v13
	v_xor_b32_e32 v13, s1, v5
	v_xor_b32_e32 v5, s0, v5
	v_and_b32_e32 v1, v1, v5
	v_lshlrev_b32_e32 v5, 27, v12
	v_cmp_gt_i64_e64 s[0:1], 0, v[4:5]
	v_not_b32_e32 v5, v5
	v_ashrrev_i32_e32 v5, 31, v5
	v_and_b32_e32 v0, v0, v13
	v_xor_b32_e32 v13, s1, v5
	v_xor_b32_e32 v5, s0, v5
	v_and_b32_e32 v1, v1, v5
	v_lshlrev_b32_e32 v5, 26, v12
	v_cmp_gt_i64_e64 s[0:1], 0, v[4:5]
	v_not_b32_e32 v5, v5
	v_ashrrev_i32_e32 v5, 31, v5
	v_and_b32_e32 v0, v0, v13
	v_xor_b32_e32 v13, s1, v5
	v_xor_b32_e32 v5, s0, v5
	v_and_b32_e32 v1, v1, v5
	v_lshlrev_b32_e32 v5, 25, v12
	v_cmp_gt_i64_e64 s[0:1], 0, v[4:5]
	v_not_b32_e32 v5, v5
	v_ashrrev_i32_e32 v5, 31, v5
	v_and_b32_e32 v0, v0, v13
	v_xor_b32_e32 v13, s1, v5
	v_xor_b32_e32 v5, s0, v5
	v_and_b32_e32 v0, v0, v13
	v_and_b32_e32 v13, v1, v5
	v_lshlrev_b32_e32 v5, 24, v12
	v_not_b32_e32 v1, v5
	v_cmp_gt_i64_e64 s[0:1], 0, v[4:5]
	v_ashrrev_i32_e32 v1, 31, v1
	v_xor_b32_e32 v4, s1, v1
	v_xor_b32_e32 v5, s0, v1
	v_and_b32_e32 v1, v0, v4
	v_and_b32_e32 v0, v13, v5
	v_mbcnt_lo_u32_b32 v4, v0, 0
	v_mbcnt_hi_u32_b32 v4, v1, v4
	v_cmp_eq_u32_e64 s[0:1], 0, v4
	s_waitcnt lgkmcnt(0)
	s_barrier
	s_and_saveexec_b64 s[4:5], s[0:1]
	s_cbranch_execz .LBB20_4
; %bb.3:
	v_bcnt_u32_b32 v0, v0, 0
	v_lshlrev_b32_e32 v4, 2, v12
	v_bcnt_u32_b32 v0, v1, v0
	ds_add_u32 v4, v0
.LBB20_4:
	s_or_b64 exec, exec, s[4:5]
	s_waitcnt vmcnt(5)
	v_and_b32_e32 v1, 1, v11
	v_add_co_u32_e64 v4, s[0:1], -1, v1
	v_addc_co_u32_e64 v5, s[0:1], 0, -1, s[0:1]
	v_cmp_ne_u32_e64 s[0:1], 0, v1
	v_xor_b32_e32 v1, s1, v5
	v_mov_b32_e32 v0, 0
	v_and_b32_e32 v5, exec_hi, v1
	v_lshlrev_b32_e32 v1, 30, v11
	v_xor_b32_e32 v4, s0, v4
	v_cmp_gt_i64_e64 s[0:1], 0, v[0:1]
	v_not_b32_e32 v1, v1
	v_ashrrev_i32_e32 v1, 31, v1
	v_and_b32_e32 v4, exec_lo, v4
	v_xor_b32_e32 v12, s1, v1
	v_xor_b32_e32 v1, s0, v1
	v_and_b32_e32 v4, v4, v1
	v_lshlrev_b32_e32 v1, 29, v11
	v_cmp_gt_i64_e64 s[0:1], 0, v[0:1]
	v_not_b32_e32 v1, v1
	v_ashrrev_i32_e32 v1, 31, v1
	v_and_b32_e32 v5, v5, v12
	v_xor_b32_e32 v12, s1, v1
	v_xor_b32_e32 v1, s0, v1
	v_and_b32_e32 v4, v4, v1
	v_lshlrev_b32_e32 v1, 28, v11
	v_cmp_gt_i64_e64 s[0:1], 0, v[0:1]
	v_not_b32_e32 v1, v1
	v_ashrrev_i32_e32 v1, 31, v1
	v_and_b32_e32 v5, v5, v12
	;; [unrolled: 8-line block ×5, first 2 shown]
	v_xor_b32_e32 v12, s1, v1
	v_xor_b32_e32 v1, s0, v1
	v_and_b32_e32 v4, v4, v1
	v_lshlrev_b32_e32 v1, 24, v11
	v_cmp_gt_i64_e64 s[0:1], 0, v[0:1]
	v_not_b32_e32 v1, v1
	v_ashrrev_i32_e32 v1, 31, v1
	v_xor_b32_e32 v13, s0, v1
	v_and_b32_e32 v5, v5, v12
	v_xor_b32_e32 v12, s1, v1
	v_and_b32_e32 v4, v4, v13
	v_and_b32_e32 v1, v5, v12
	v_mbcnt_lo_u32_b32 v5, v4, 0
	v_mbcnt_hi_u32_b32 v5, v1, v5
	v_cmp_eq_u32_e64 s[0:1], 0, v5
	s_and_saveexec_b64 s[4:5], s[0:1]
	s_cbranch_execz .LBB20_6
; %bb.5:
	v_bcnt_u32_b32 v4, v4, 0
	v_lshlrev_b32_e32 v5, 2, v11
	v_bcnt_u32_b32 v1, v1, v4
	ds_add_u32 v5, v1
.LBB20_6:
	s_or_b64 exec, exec, s[4:5]
	s_waitcnt vmcnt(4)
	v_and_b32_e32 v1, 1, v10
	v_add_co_u32_e64 v4, s[0:1], -1, v1
	v_addc_co_u32_e64 v5, s[0:1], 0, -1, s[0:1]
	v_cmp_ne_u32_e64 s[0:1], 0, v1
	v_xor_b32_e32 v1, s1, v5
	v_and_b32_e32 v5, exec_hi, v1
	v_lshlrev_b32_e32 v1, 30, v10
	v_xor_b32_e32 v4, s0, v4
	v_cmp_gt_i64_e64 s[0:1], 0, v[0:1]
	v_not_b32_e32 v1, v1
	v_ashrrev_i32_e32 v1, 31, v1
	v_and_b32_e32 v4, exec_lo, v4
	v_xor_b32_e32 v11, s1, v1
	v_xor_b32_e32 v1, s0, v1
	v_and_b32_e32 v4, v4, v1
	v_lshlrev_b32_e32 v1, 29, v10
	v_cmp_gt_i64_e64 s[0:1], 0, v[0:1]
	v_not_b32_e32 v1, v1
	v_ashrrev_i32_e32 v1, 31, v1
	v_and_b32_e32 v5, v5, v11
	v_xor_b32_e32 v11, s1, v1
	v_xor_b32_e32 v1, s0, v1
	v_and_b32_e32 v4, v4, v1
	v_lshlrev_b32_e32 v1, 28, v10
	v_cmp_gt_i64_e64 s[0:1], 0, v[0:1]
	v_not_b32_e32 v1, v1
	v_ashrrev_i32_e32 v1, 31, v1
	v_and_b32_e32 v5, v5, v11
	;; [unrolled: 8-line block ×5, first 2 shown]
	v_xor_b32_e32 v11, s1, v1
	v_xor_b32_e32 v1, s0, v1
	v_and_b32_e32 v4, v4, v1
	v_lshlrev_b32_e32 v1, 24, v10
	v_cmp_gt_i64_e64 s[0:1], 0, v[0:1]
	v_not_b32_e32 v0, v1
	v_ashrrev_i32_e32 v0, 31, v0
	v_xor_b32_e32 v1, s1, v0
	v_xor_b32_e32 v0, s0, v0
	v_and_b32_e32 v5, v5, v11
	v_and_b32_e32 v0, v4, v0
	;; [unrolled: 1-line block ×3, first 2 shown]
	v_mbcnt_lo_u32_b32 v4, v0, 0
	v_mbcnt_hi_u32_b32 v4, v1, v4
	v_cmp_eq_u32_e64 s[0:1], 0, v4
	s_and_saveexec_b64 s[4:5], s[0:1]
	s_cbranch_execz .LBB20_8
; %bb.7:
	v_bcnt_u32_b32 v0, v0, 0
	v_lshlrev_b32_e32 v4, 2, v10
	v_bcnt_u32_b32 v0, v1, v0
	ds_add_u32 v4, v0
.LBB20_8:
	s_or_b64 exec, exec, s[4:5]
	s_waitcnt vmcnt(3)
	v_and_b32_e32 v1, 1, v9
	v_add_co_u32_e64 v4, s[0:1], -1, v1
	v_addc_co_u32_e64 v5, s[0:1], 0, -1, s[0:1]
	v_cmp_ne_u32_e64 s[0:1], 0, v1
	v_xor_b32_e32 v1, s1, v5
	v_mov_b32_e32 v0, 0
	v_and_b32_e32 v5, exec_hi, v1
	v_lshlrev_b32_e32 v1, 30, v9
	v_xor_b32_e32 v4, s0, v4
	v_cmp_gt_i64_e64 s[0:1], 0, v[0:1]
	v_not_b32_e32 v1, v1
	v_ashrrev_i32_e32 v1, 31, v1
	v_and_b32_e32 v4, exec_lo, v4
	v_xor_b32_e32 v10, s1, v1
	v_xor_b32_e32 v1, s0, v1
	v_and_b32_e32 v4, v4, v1
	v_lshlrev_b32_e32 v1, 29, v9
	v_cmp_gt_i64_e64 s[0:1], 0, v[0:1]
	v_not_b32_e32 v1, v1
	v_ashrrev_i32_e32 v1, 31, v1
	v_and_b32_e32 v5, v5, v10
	v_xor_b32_e32 v10, s1, v1
	v_xor_b32_e32 v1, s0, v1
	v_and_b32_e32 v4, v4, v1
	v_lshlrev_b32_e32 v1, 28, v9
	v_cmp_gt_i64_e64 s[0:1], 0, v[0:1]
	v_not_b32_e32 v1, v1
	v_ashrrev_i32_e32 v1, 31, v1
	v_and_b32_e32 v5, v5, v10
	;; [unrolled: 8-line block ×5, first 2 shown]
	v_xor_b32_e32 v10, s1, v1
	v_xor_b32_e32 v1, s0, v1
	v_and_b32_e32 v4, v4, v1
	v_lshlrev_b32_e32 v1, 24, v9
	v_cmp_gt_i64_e64 s[0:1], 0, v[0:1]
	v_not_b32_e32 v1, v1
	v_ashrrev_i32_e32 v1, 31, v1
	v_xor_b32_e32 v11, s0, v1
	v_and_b32_e32 v5, v5, v10
	v_xor_b32_e32 v10, s1, v1
	v_and_b32_e32 v4, v4, v11
	v_and_b32_e32 v1, v5, v10
	v_mbcnt_lo_u32_b32 v5, v4, 0
	v_mbcnt_hi_u32_b32 v5, v1, v5
	v_cmp_eq_u32_e64 s[0:1], 0, v5
	s_and_saveexec_b64 s[4:5], s[0:1]
	s_cbranch_execz .LBB20_10
; %bb.9:
	v_bcnt_u32_b32 v4, v4, 0
	v_lshlrev_b32_e32 v5, 2, v9
	v_bcnt_u32_b32 v1, v1, v4
	ds_add_u32 v5, v1
.LBB20_10:
	s_or_b64 exec, exec, s[4:5]
	s_waitcnt vmcnt(2)
	v_and_b32_e32 v1, 1, v8
	v_add_co_u32_e64 v4, s[0:1], -1, v1
	v_addc_co_u32_e64 v5, s[0:1], 0, -1, s[0:1]
	v_cmp_ne_u32_e64 s[0:1], 0, v1
	v_xor_b32_e32 v1, s1, v5
	v_and_b32_e32 v5, exec_hi, v1
	v_lshlrev_b32_e32 v1, 30, v8
	v_xor_b32_e32 v4, s0, v4
	v_cmp_gt_i64_e64 s[0:1], 0, v[0:1]
	v_not_b32_e32 v1, v1
	v_ashrrev_i32_e32 v1, 31, v1
	v_and_b32_e32 v4, exec_lo, v4
	v_xor_b32_e32 v9, s1, v1
	v_xor_b32_e32 v1, s0, v1
	v_and_b32_e32 v4, v4, v1
	v_lshlrev_b32_e32 v1, 29, v8
	v_cmp_gt_i64_e64 s[0:1], 0, v[0:1]
	v_not_b32_e32 v1, v1
	v_ashrrev_i32_e32 v1, 31, v1
	v_and_b32_e32 v5, v5, v9
	v_xor_b32_e32 v9, s1, v1
	v_xor_b32_e32 v1, s0, v1
	v_and_b32_e32 v4, v4, v1
	v_lshlrev_b32_e32 v1, 28, v8
	v_cmp_gt_i64_e64 s[0:1], 0, v[0:1]
	v_not_b32_e32 v1, v1
	v_ashrrev_i32_e32 v1, 31, v1
	v_and_b32_e32 v5, v5, v9
	;; [unrolled: 8-line block ×5, first 2 shown]
	v_xor_b32_e32 v9, s1, v1
	v_xor_b32_e32 v1, s0, v1
	v_and_b32_e32 v4, v4, v1
	v_lshlrev_b32_e32 v1, 24, v8
	v_cmp_gt_i64_e64 s[0:1], 0, v[0:1]
	v_not_b32_e32 v0, v1
	v_ashrrev_i32_e32 v0, 31, v0
	v_xor_b32_e32 v1, s1, v0
	v_xor_b32_e32 v0, s0, v0
	v_and_b32_e32 v5, v5, v9
	v_and_b32_e32 v0, v4, v0
	;; [unrolled: 1-line block ×3, first 2 shown]
	v_mbcnt_lo_u32_b32 v4, v0, 0
	v_mbcnt_hi_u32_b32 v4, v1, v4
	v_cmp_eq_u32_e64 s[0:1], 0, v4
	s_and_saveexec_b64 s[4:5], s[0:1]
	s_cbranch_execz .LBB20_12
; %bb.11:
	v_bcnt_u32_b32 v0, v0, 0
	v_lshlrev_b32_e32 v4, 2, v8
	v_bcnt_u32_b32 v0, v1, v0
	ds_add_u32 v4, v0
.LBB20_12:
	s_or_b64 exec, exec, s[4:5]
	s_waitcnt vmcnt(1)
	v_and_b32_e32 v1, 1, v7
	v_add_co_u32_e64 v4, s[0:1], -1, v1
	v_addc_co_u32_e64 v5, s[0:1], 0, -1, s[0:1]
	v_cmp_ne_u32_e64 s[0:1], 0, v1
	v_xor_b32_e32 v1, s1, v5
	v_mov_b32_e32 v0, 0
	v_and_b32_e32 v5, exec_hi, v1
	v_lshlrev_b32_e32 v1, 30, v7
	v_xor_b32_e32 v4, s0, v4
	v_cmp_gt_i64_e64 s[0:1], 0, v[0:1]
	v_not_b32_e32 v1, v1
	v_ashrrev_i32_e32 v1, 31, v1
	v_and_b32_e32 v4, exec_lo, v4
	v_xor_b32_e32 v8, s1, v1
	v_xor_b32_e32 v1, s0, v1
	v_and_b32_e32 v4, v4, v1
	v_lshlrev_b32_e32 v1, 29, v7
	v_cmp_gt_i64_e64 s[0:1], 0, v[0:1]
	v_not_b32_e32 v1, v1
	v_ashrrev_i32_e32 v1, 31, v1
	v_and_b32_e32 v5, v5, v8
	v_xor_b32_e32 v8, s1, v1
	v_xor_b32_e32 v1, s0, v1
	v_and_b32_e32 v4, v4, v1
	v_lshlrev_b32_e32 v1, 28, v7
	v_cmp_gt_i64_e64 s[0:1], 0, v[0:1]
	v_not_b32_e32 v1, v1
	v_ashrrev_i32_e32 v1, 31, v1
	v_and_b32_e32 v5, v5, v8
	;; [unrolled: 8-line block ×5, first 2 shown]
	v_xor_b32_e32 v8, s1, v1
	v_xor_b32_e32 v1, s0, v1
	v_and_b32_e32 v4, v4, v1
	v_lshlrev_b32_e32 v1, 24, v7
	v_cmp_gt_i64_e64 s[0:1], 0, v[0:1]
	v_not_b32_e32 v1, v1
	v_ashrrev_i32_e32 v1, 31, v1
	v_xor_b32_e32 v9, s0, v1
	v_and_b32_e32 v5, v5, v8
	v_xor_b32_e32 v8, s1, v1
	v_and_b32_e32 v4, v4, v9
	v_and_b32_e32 v1, v5, v8
	v_mbcnt_lo_u32_b32 v5, v4, 0
	v_mbcnt_hi_u32_b32 v5, v1, v5
	v_cmp_eq_u32_e64 s[0:1], 0, v5
	s_and_saveexec_b64 s[4:5], s[0:1]
	s_cbranch_execz .LBB20_14
; %bb.13:
	v_bcnt_u32_b32 v4, v4, 0
	v_lshlrev_b32_e32 v5, 2, v7
	v_bcnt_u32_b32 v1, v1, v4
	ds_add_u32 v5, v1
.LBB20_14:
	s_or_b64 exec, exec, s[4:5]
	s_waitcnt vmcnt(0)
	v_and_b32_e32 v1, 1, v3
	v_add_co_u32_e64 v4, s[0:1], -1, v1
	v_addc_co_u32_e64 v5, s[0:1], 0, -1, s[0:1]
	v_cmp_ne_u32_e64 s[0:1], 0, v1
	v_xor_b32_e32 v1, s1, v5
	v_and_b32_e32 v5, exec_hi, v1
	v_lshlrev_b32_e32 v1, 30, v3
	v_xor_b32_e32 v4, s0, v4
	v_cmp_gt_i64_e64 s[0:1], 0, v[0:1]
	v_not_b32_e32 v1, v1
	v_ashrrev_i32_e32 v1, 31, v1
	v_and_b32_e32 v4, exec_lo, v4
	v_xor_b32_e32 v7, s1, v1
	v_xor_b32_e32 v1, s0, v1
	v_and_b32_e32 v4, v4, v1
	v_lshlrev_b32_e32 v1, 29, v3
	v_cmp_gt_i64_e64 s[0:1], 0, v[0:1]
	v_not_b32_e32 v1, v1
	v_ashrrev_i32_e32 v1, 31, v1
	v_and_b32_e32 v5, v5, v7
	v_xor_b32_e32 v7, s1, v1
	v_xor_b32_e32 v1, s0, v1
	v_and_b32_e32 v4, v4, v1
	v_lshlrev_b32_e32 v1, 28, v3
	v_cmp_gt_i64_e64 s[0:1], 0, v[0:1]
	v_not_b32_e32 v1, v1
	v_ashrrev_i32_e32 v1, 31, v1
	v_and_b32_e32 v5, v5, v7
	;; [unrolled: 8-line block ×5, first 2 shown]
	v_xor_b32_e32 v7, s1, v1
	v_xor_b32_e32 v1, s0, v1
	v_and_b32_e32 v4, v4, v1
	v_lshlrev_b32_e32 v1, 24, v3
	v_cmp_gt_i64_e64 s[0:1], 0, v[0:1]
	v_not_b32_e32 v0, v1
	v_ashrrev_i32_e32 v0, 31, v0
	v_xor_b32_e32 v1, s1, v0
	v_xor_b32_e32 v0, s0, v0
	v_and_b32_e32 v5, v5, v7
	v_and_b32_e32 v0, v4, v0
	;; [unrolled: 1-line block ×3, first 2 shown]
	v_mbcnt_lo_u32_b32 v4, v0, 0
	v_mbcnt_hi_u32_b32 v4, v1, v4
	v_cmp_eq_u32_e64 s[0:1], 0, v4
	s_and_saveexec_b64 s[4:5], s[0:1]
	s_cbranch_execz .LBB20_16
; %bb.15:
	v_bcnt_u32_b32 v0, v0, 0
	v_lshlrev_b32_e32 v3, 2, v3
	v_bcnt_u32_b32 v0, v1, v0
	ds_add_u32 v3, v0
.LBB20_16:
	s_or_b64 exec, exec, s[4:5]
	s_waitcnt lgkmcnt(0)
	s_barrier
	s_barrier
	s_and_saveexec_b64 s[0:1], vcc
	s_cbranch_execz .LBB20_18
; %bb.17:
	v_mov_b32_e32 v3, 0
	v_lshlrev_b64 v[0:1], 2, v[2:3]
	ds_read_b32 v3, v6
	v_mov_b32_e32 v2, s3
	v_add_co_u32_e32 v0, vcc, s2, v0
	v_addc_co_u32_e32 v1, vcc, v2, v1, vcc
	s_waitcnt lgkmcnt(0)
	global_store_dword v[0:1], v3, off
.LBB20_18:
	s_endpgm
	.section	.rodata,"a",@progbits
	.p2align	6, 0x0
	.amdhsa_kernel _Z16histogram_kernelILj162ELj7ELj162ELN6hipcub23BlockHistogramAlgorithmE0EjEvPT3_S3_
		.amdhsa_group_segment_fixed_size 648
		.amdhsa_private_segment_fixed_size 0
		.amdhsa_kernarg_size 16
		.amdhsa_user_sgpr_count 6
		.amdhsa_user_sgpr_private_segment_buffer 1
		.amdhsa_user_sgpr_dispatch_ptr 0
		.amdhsa_user_sgpr_queue_ptr 0
		.amdhsa_user_sgpr_kernarg_segment_ptr 1
		.amdhsa_user_sgpr_dispatch_id 0
		.amdhsa_user_sgpr_flat_scratch_init 0
		.amdhsa_user_sgpr_kernarg_preload_length 0
		.amdhsa_user_sgpr_kernarg_preload_offset 0
		.amdhsa_user_sgpr_private_segment_size 0
		.amdhsa_uses_dynamic_stack 0
		.amdhsa_system_sgpr_private_segment_wavefront_offset 0
		.amdhsa_system_sgpr_workgroup_id_x 1
		.amdhsa_system_sgpr_workgroup_id_y 0
		.amdhsa_system_sgpr_workgroup_id_z 0
		.amdhsa_system_sgpr_workgroup_info 0
		.amdhsa_system_vgpr_workitem_id 0
		.amdhsa_next_free_vgpr 28
		.amdhsa_next_free_sgpr 7
		.amdhsa_accum_offset 28
		.amdhsa_reserve_vcc 1
		.amdhsa_reserve_flat_scratch 0
		.amdhsa_float_round_mode_32 0
		.amdhsa_float_round_mode_16_64 0
		.amdhsa_float_denorm_mode_32 3
		.amdhsa_float_denorm_mode_16_64 3
		.amdhsa_dx10_clamp 1
		.amdhsa_ieee_mode 1
		.amdhsa_fp16_overflow 0
		.amdhsa_tg_split 0
		.amdhsa_exception_fp_ieee_invalid_op 0
		.amdhsa_exception_fp_denorm_src 0
		.amdhsa_exception_fp_ieee_div_zero 0
		.amdhsa_exception_fp_ieee_overflow 0
		.amdhsa_exception_fp_ieee_underflow 0
		.amdhsa_exception_fp_ieee_inexact 0
		.amdhsa_exception_int_div_zero 0
	.end_amdhsa_kernel
	.section	.text._Z16histogram_kernelILj162ELj7ELj162ELN6hipcub23BlockHistogramAlgorithmE0EjEvPT3_S3_,"axG",@progbits,_Z16histogram_kernelILj162ELj7ELj162ELN6hipcub23BlockHistogramAlgorithmE0EjEvPT3_S3_,comdat
.Lfunc_end20:
	.size	_Z16histogram_kernelILj162ELj7ELj162ELN6hipcub23BlockHistogramAlgorithmE0EjEvPT3_S3_, .Lfunc_end20-_Z16histogram_kernelILj162ELj7ELj162ELN6hipcub23BlockHistogramAlgorithmE0EjEvPT3_S3_
                                        ; -- End function
	.section	.AMDGPU.csdata,"",@progbits
; Kernel info:
; codeLenInByte = 2920
; NumSgprs: 11
; NumVgprs: 28
; NumAgprs: 0
; TotalNumVgprs: 28
; ScratchSize: 0
; MemoryBound: 0
; FloatMode: 240
; IeeeMode: 1
; LDSByteSize: 648 bytes/workgroup (compile time only)
; SGPRBlocks: 1
; VGPRBlocks: 3
; NumSGPRsForWavesPerEU: 11
; NumVGPRsForWavesPerEU: 28
; AccumOffset: 28
; Occupancy: 8
; WaveLimiterHint : 0
; COMPUTE_PGM_RSRC2:SCRATCH_EN: 0
; COMPUTE_PGM_RSRC2:USER_SGPR: 6
; COMPUTE_PGM_RSRC2:TRAP_HANDLER: 0
; COMPUTE_PGM_RSRC2:TGID_X_EN: 1
; COMPUTE_PGM_RSRC2:TGID_Y_EN: 0
; COMPUTE_PGM_RSRC2:TGID_Z_EN: 0
; COMPUTE_PGM_RSRC2:TIDIG_COMP_CNT: 0
; COMPUTE_PGM_RSRC3_GFX90A:ACCUM_OFFSET: 6
; COMPUTE_PGM_RSRC3_GFX90A:TG_SPLIT: 0
	.section	.text._Z16histogram_kernelILj65ELj5ELj65ELN6hipcub23BlockHistogramAlgorithmE0EjEvPT3_S3_,"axG",@progbits,_Z16histogram_kernelILj65ELj5ELj65ELN6hipcub23BlockHistogramAlgorithmE0EjEvPT3_S3_,comdat
	.protected	_Z16histogram_kernelILj65ELj5ELj65ELN6hipcub23BlockHistogramAlgorithmE0EjEvPT3_S3_ ; -- Begin function _Z16histogram_kernelILj65ELj5ELj65ELN6hipcub23BlockHistogramAlgorithmE0EjEvPT3_S3_
	.globl	_Z16histogram_kernelILj65ELj5ELj65ELN6hipcub23BlockHistogramAlgorithmE0EjEvPT3_S3_
	.p2align	8
	.type	_Z16histogram_kernelILj65ELj5ELj65ELN6hipcub23BlockHistogramAlgorithmE0EjEvPT3_S3_,@function
_Z16histogram_kernelILj65ELj5ELj65ELN6hipcub23BlockHistogramAlgorithmE0EjEvPT3_S3_: ; @_Z16histogram_kernelILj65ELj5ELj65ELN6hipcub23BlockHistogramAlgorithmE0EjEvPT3_S3_
; %bb.0:
	s_load_dwordx4 s[0:3], s[4:5], 0x0
	s_mulk_i32 s6, 0x41
	v_add_u32_e32 v2, s6, v0
	v_mov_b32_e32 v4, 0
	v_lshl_add_u32 v6, v2, 2, v2
	v_mov_b32_e32 v7, v4
	v_lshlrev_b64 v[8:9], 2, v[6:7]
	s_waitcnt lgkmcnt(0)
	v_mov_b32_e32 v1, s1
	v_add_co_u32_e32 v12, vcc, s0, v8
	v_addc_co_u32_e32 v13, vcc, v1, v9, vcc
	v_add_u32_e32 v8, 1, v6
	v_mov_b32_e32 v9, v4
	v_lshlrev_b64 v[8:9], 2, v[8:9]
	v_add_co_u32_e32 v14, vcc, s0, v8
	v_addc_co_u32_e32 v15, vcc, v1, v9, vcc
	v_add_u32_e32 v8, 2, v6
	v_mov_b32_e32 v9, v4
	v_lshlrev_b64 v[8:9], 2, v[8:9]
	;; [unrolled: 5-line block ×3, first 2 shown]
	v_add_co_u32_e32 v18, vcc, s0, v8
	v_add_u32_e32 v6, 4, v6
	v_addc_co_u32_e32 v19, vcc, v1, v9, vcc
	v_lshlrev_b64 v[6:7], 2, v[6:7]
	v_add_co_u32_e32 v20, vcc, s0, v6
	v_addc_co_u32_e32 v21, vcc, v1, v7, vcc
	global_load_dword v10, v[12:13], off
	global_load_dword v9, v[14:15], off
	;; [unrolled: 1-line block ×5, first 2 shown]
	s_movk_i32 s0, 0x41
	v_cmp_gt_u32_e32 vcc, s0, v0
	v_lshlrev_b32_e32 v6, 2, v0
	s_and_saveexec_b64 s[0:1], vcc
	s_cbranch_execz .LBB21_2
; %bb.1:
	ds_write_b32 v6, v4
.LBB21_2:
	s_or_b64 exec, exec, s[0:1]
	s_waitcnt vmcnt(4)
	v_and_b32_e32 v0, 1, v10
	v_add_co_u32_e64 v1, s[0:1], -1, v0
	v_addc_co_u32_e64 v5, s[0:1], 0, -1, s[0:1]
	v_cmp_ne_u32_e64 s[0:1], 0, v0
	v_xor_b32_e32 v0, s1, v5
	v_lshlrev_b32_e32 v5, 30, v10
	v_xor_b32_e32 v1, s0, v1
	v_cmp_gt_i64_e64 s[0:1], 0, v[4:5]
	v_not_b32_e32 v5, v5
	v_ashrrev_i32_e32 v5, 31, v5
	v_and_b32_e32 v1, exec_lo, v1
	v_xor_b32_e32 v11, s1, v5
	v_xor_b32_e32 v5, s0, v5
	v_and_b32_e32 v1, v1, v5
	v_lshlrev_b32_e32 v5, 29, v10
	v_cmp_gt_i64_e64 s[0:1], 0, v[4:5]
	v_not_b32_e32 v5, v5
	v_and_b32_e32 v0, exec_hi, v0
	v_ashrrev_i32_e32 v5, 31, v5
	v_and_b32_e32 v0, v0, v11
	v_xor_b32_e32 v11, s1, v5
	v_xor_b32_e32 v5, s0, v5
	v_and_b32_e32 v1, v1, v5
	v_lshlrev_b32_e32 v5, 28, v10
	v_cmp_gt_i64_e64 s[0:1], 0, v[4:5]
	v_not_b32_e32 v5, v5
	v_ashrrev_i32_e32 v5, 31, v5
	v_and_b32_e32 v0, v0, v11
	v_xor_b32_e32 v11, s1, v5
	v_xor_b32_e32 v5, s0, v5
	v_and_b32_e32 v1, v1, v5
	v_lshlrev_b32_e32 v5, 27, v10
	v_cmp_gt_i64_e64 s[0:1], 0, v[4:5]
	v_not_b32_e32 v5, v5
	;; [unrolled: 8-line block ×3, first 2 shown]
	v_ashrrev_i32_e32 v5, 31, v5
	v_and_b32_e32 v0, v0, v11
	v_xor_b32_e32 v11, s1, v5
	v_xor_b32_e32 v5, s0, v5
	v_and_b32_e32 v0, v0, v11
	v_and_b32_e32 v11, v1, v5
	v_lshlrev_b32_e32 v5, 25, v10
	v_not_b32_e32 v1, v5
	v_cmp_gt_i64_e64 s[0:1], 0, v[4:5]
	v_ashrrev_i32_e32 v1, 31, v1
	v_xor_b32_e32 v4, s1, v1
	v_xor_b32_e32 v5, s0, v1
	v_and_b32_e32 v1, v0, v4
	v_and_b32_e32 v0, v11, v5
	v_mbcnt_lo_u32_b32 v4, v0, 0
	v_mbcnt_hi_u32_b32 v4, v1, v4
	v_cmp_eq_u32_e64 s[0:1], 0, v4
	s_waitcnt lgkmcnt(0)
	s_barrier
	s_and_saveexec_b64 s[4:5], s[0:1]
	s_cbranch_execz .LBB21_4
; %bb.3:
	v_bcnt_u32_b32 v0, v0, 0
	v_lshlrev_b32_e32 v4, 2, v10
	v_bcnt_u32_b32 v0, v1, v0
	ds_add_u32 v4, v0
.LBB21_4:
	s_or_b64 exec, exec, s[4:5]
	s_waitcnt vmcnt(3)
	v_and_b32_e32 v1, 1, v9
	v_add_co_u32_e64 v4, s[0:1], -1, v1
	v_addc_co_u32_e64 v5, s[0:1], 0, -1, s[0:1]
	v_cmp_ne_u32_e64 s[0:1], 0, v1
	v_xor_b32_e32 v1, s1, v5
	v_mov_b32_e32 v0, 0
	v_and_b32_e32 v5, exec_hi, v1
	v_lshlrev_b32_e32 v1, 30, v9
	v_xor_b32_e32 v4, s0, v4
	v_cmp_gt_i64_e64 s[0:1], 0, v[0:1]
	v_not_b32_e32 v1, v1
	v_ashrrev_i32_e32 v1, 31, v1
	v_and_b32_e32 v4, exec_lo, v4
	v_xor_b32_e32 v10, s1, v1
	v_xor_b32_e32 v1, s0, v1
	v_and_b32_e32 v4, v4, v1
	v_lshlrev_b32_e32 v1, 29, v9
	v_cmp_gt_i64_e64 s[0:1], 0, v[0:1]
	v_not_b32_e32 v1, v1
	v_ashrrev_i32_e32 v1, 31, v1
	v_and_b32_e32 v5, v5, v10
	v_xor_b32_e32 v10, s1, v1
	v_xor_b32_e32 v1, s0, v1
	v_and_b32_e32 v4, v4, v1
	v_lshlrev_b32_e32 v1, 28, v9
	v_cmp_gt_i64_e64 s[0:1], 0, v[0:1]
	v_not_b32_e32 v1, v1
	v_ashrrev_i32_e32 v1, 31, v1
	v_and_b32_e32 v5, v5, v10
	;; [unrolled: 8-line block ×4, first 2 shown]
	v_xor_b32_e32 v10, s1, v1
	v_xor_b32_e32 v1, s0, v1
	v_and_b32_e32 v4, v4, v1
	v_lshlrev_b32_e32 v1, 25, v9
	v_cmp_gt_i64_e64 s[0:1], 0, v[0:1]
	v_not_b32_e32 v1, v1
	v_ashrrev_i32_e32 v1, 31, v1
	v_xor_b32_e32 v11, s0, v1
	v_and_b32_e32 v5, v5, v10
	v_xor_b32_e32 v10, s1, v1
	v_and_b32_e32 v4, v4, v11
	v_and_b32_e32 v1, v5, v10
	v_mbcnt_lo_u32_b32 v5, v4, 0
	v_mbcnt_hi_u32_b32 v5, v1, v5
	v_cmp_eq_u32_e64 s[0:1], 0, v5
	s_and_saveexec_b64 s[4:5], s[0:1]
	s_cbranch_execz .LBB21_6
; %bb.5:
	v_bcnt_u32_b32 v4, v4, 0
	v_lshlrev_b32_e32 v5, 2, v9
	v_bcnt_u32_b32 v1, v1, v4
	ds_add_u32 v5, v1
.LBB21_6:
	s_or_b64 exec, exec, s[4:5]
	s_waitcnt vmcnt(2)
	v_and_b32_e32 v1, 1, v8
	v_add_co_u32_e64 v4, s[0:1], -1, v1
	v_addc_co_u32_e64 v5, s[0:1], 0, -1, s[0:1]
	v_cmp_ne_u32_e64 s[0:1], 0, v1
	v_xor_b32_e32 v1, s1, v5
	v_and_b32_e32 v5, exec_hi, v1
	v_lshlrev_b32_e32 v1, 30, v8
	v_xor_b32_e32 v4, s0, v4
	v_cmp_gt_i64_e64 s[0:1], 0, v[0:1]
	v_not_b32_e32 v1, v1
	v_ashrrev_i32_e32 v1, 31, v1
	v_and_b32_e32 v4, exec_lo, v4
	v_xor_b32_e32 v9, s1, v1
	v_xor_b32_e32 v1, s0, v1
	v_and_b32_e32 v4, v4, v1
	v_lshlrev_b32_e32 v1, 29, v8
	v_cmp_gt_i64_e64 s[0:1], 0, v[0:1]
	v_not_b32_e32 v1, v1
	v_ashrrev_i32_e32 v1, 31, v1
	v_and_b32_e32 v5, v5, v9
	v_xor_b32_e32 v9, s1, v1
	v_xor_b32_e32 v1, s0, v1
	v_and_b32_e32 v4, v4, v1
	v_lshlrev_b32_e32 v1, 28, v8
	v_cmp_gt_i64_e64 s[0:1], 0, v[0:1]
	v_not_b32_e32 v1, v1
	v_ashrrev_i32_e32 v1, 31, v1
	v_and_b32_e32 v5, v5, v9
	;; [unrolled: 8-line block ×4, first 2 shown]
	v_xor_b32_e32 v9, s1, v1
	v_xor_b32_e32 v1, s0, v1
	v_and_b32_e32 v4, v4, v1
	v_lshlrev_b32_e32 v1, 25, v8
	v_cmp_gt_i64_e64 s[0:1], 0, v[0:1]
	v_not_b32_e32 v0, v1
	v_ashrrev_i32_e32 v0, 31, v0
	v_xor_b32_e32 v1, s1, v0
	v_xor_b32_e32 v0, s0, v0
	v_and_b32_e32 v5, v5, v9
	v_and_b32_e32 v0, v4, v0
	;; [unrolled: 1-line block ×3, first 2 shown]
	v_mbcnt_lo_u32_b32 v4, v0, 0
	v_mbcnt_hi_u32_b32 v4, v1, v4
	v_cmp_eq_u32_e64 s[0:1], 0, v4
	s_and_saveexec_b64 s[4:5], s[0:1]
	s_cbranch_execz .LBB21_8
; %bb.7:
	v_bcnt_u32_b32 v0, v0, 0
	v_lshlrev_b32_e32 v4, 2, v8
	v_bcnt_u32_b32 v0, v1, v0
	ds_add_u32 v4, v0
.LBB21_8:
	s_or_b64 exec, exec, s[4:5]
	s_waitcnt vmcnt(1)
	v_and_b32_e32 v1, 1, v7
	v_add_co_u32_e64 v4, s[0:1], -1, v1
	v_addc_co_u32_e64 v5, s[0:1], 0, -1, s[0:1]
	v_cmp_ne_u32_e64 s[0:1], 0, v1
	v_xor_b32_e32 v1, s1, v5
	v_mov_b32_e32 v0, 0
	v_and_b32_e32 v5, exec_hi, v1
	v_lshlrev_b32_e32 v1, 30, v7
	v_xor_b32_e32 v4, s0, v4
	v_cmp_gt_i64_e64 s[0:1], 0, v[0:1]
	v_not_b32_e32 v1, v1
	v_ashrrev_i32_e32 v1, 31, v1
	v_and_b32_e32 v4, exec_lo, v4
	v_xor_b32_e32 v8, s1, v1
	v_xor_b32_e32 v1, s0, v1
	v_and_b32_e32 v4, v4, v1
	v_lshlrev_b32_e32 v1, 29, v7
	v_cmp_gt_i64_e64 s[0:1], 0, v[0:1]
	v_not_b32_e32 v1, v1
	v_ashrrev_i32_e32 v1, 31, v1
	v_and_b32_e32 v5, v5, v8
	v_xor_b32_e32 v8, s1, v1
	v_xor_b32_e32 v1, s0, v1
	v_and_b32_e32 v4, v4, v1
	v_lshlrev_b32_e32 v1, 28, v7
	v_cmp_gt_i64_e64 s[0:1], 0, v[0:1]
	v_not_b32_e32 v1, v1
	v_ashrrev_i32_e32 v1, 31, v1
	v_and_b32_e32 v5, v5, v8
	;; [unrolled: 8-line block ×4, first 2 shown]
	v_xor_b32_e32 v8, s1, v1
	v_xor_b32_e32 v1, s0, v1
	v_and_b32_e32 v4, v4, v1
	v_lshlrev_b32_e32 v1, 25, v7
	v_cmp_gt_i64_e64 s[0:1], 0, v[0:1]
	v_not_b32_e32 v1, v1
	v_ashrrev_i32_e32 v1, 31, v1
	v_xor_b32_e32 v9, s0, v1
	v_and_b32_e32 v5, v5, v8
	v_xor_b32_e32 v8, s1, v1
	v_and_b32_e32 v4, v4, v9
	v_and_b32_e32 v1, v5, v8
	v_mbcnt_lo_u32_b32 v5, v4, 0
	v_mbcnt_hi_u32_b32 v5, v1, v5
	v_cmp_eq_u32_e64 s[0:1], 0, v5
	s_and_saveexec_b64 s[4:5], s[0:1]
	s_cbranch_execz .LBB21_10
; %bb.9:
	v_bcnt_u32_b32 v4, v4, 0
	v_lshlrev_b32_e32 v5, 2, v7
	v_bcnt_u32_b32 v1, v1, v4
	ds_add_u32 v5, v1
.LBB21_10:
	s_or_b64 exec, exec, s[4:5]
	s_waitcnt vmcnt(0)
	v_and_b32_e32 v1, 1, v3
	v_add_co_u32_e64 v4, s[0:1], -1, v1
	v_addc_co_u32_e64 v5, s[0:1], 0, -1, s[0:1]
	v_cmp_ne_u32_e64 s[0:1], 0, v1
	v_xor_b32_e32 v1, s1, v5
	v_and_b32_e32 v5, exec_hi, v1
	v_lshlrev_b32_e32 v1, 30, v3
	v_xor_b32_e32 v4, s0, v4
	v_cmp_gt_i64_e64 s[0:1], 0, v[0:1]
	v_not_b32_e32 v1, v1
	v_ashrrev_i32_e32 v1, 31, v1
	v_and_b32_e32 v4, exec_lo, v4
	v_xor_b32_e32 v7, s1, v1
	v_xor_b32_e32 v1, s0, v1
	v_and_b32_e32 v4, v4, v1
	v_lshlrev_b32_e32 v1, 29, v3
	v_cmp_gt_i64_e64 s[0:1], 0, v[0:1]
	v_not_b32_e32 v1, v1
	v_ashrrev_i32_e32 v1, 31, v1
	v_and_b32_e32 v5, v5, v7
	v_xor_b32_e32 v7, s1, v1
	v_xor_b32_e32 v1, s0, v1
	v_and_b32_e32 v4, v4, v1
	v_lshlrev_b32_e32 v1, 28, v3
	v_cmp_gt_i64_e64 s[0:1], 0, v[0:1]
	v_not_b32_e32 v1, v1
	v_ashrrev_i32_e32 v1, 31, v1
	v_and_b32_e32 v5, v5, v7
	;; [unrolled: 8-line block ×4, first 2 shown]
	v_xor_b32_e32 v7, s1, v1
	v_xor_b32_e32 v1, s0, v1
	v_and_b32_e32 v4, v4, v1
	v_lshlrev_b32_e32 v1, 25, v3
	v_cmp_gt_i64_e64 s[0:1], 0, v[0:1]
	v_not_b32_e32 v0, v1
	v_ashrrev_i32_e32 v0, 31, v0
	v_xor_b32_e32 v1, s1, v0
	v_xor_b32_e32 v0, s0, v0
	v_and_b32_e32 v5, v5, v7
	v_and_b32_e32 v0, v4, v0
	v_and_b32_e32 v1, v5, v1
	v_mbcnt_lo_u32_b32 v4, v0, 0
	v_mbcnt_hi_u32_b32 v4, v1, v4
	v_cmp_eq_u32_e64 s[0:1], 0, v4
	s_and_saveexec_b64 s[4:5], s[0:1]
	s_cbranch_execz .LBB21_12
; %bb.11:
	v_bcnt_u32_b32 v0, v0, 0
	v_lshlrev_b32_e32 v3, 2, v3
	v_bcnt_u32_b32 v0, v1, v0
	ds_add_u32 v3, v0
.LBB21_12:
	s_or_b64 exec, exec, s[4:5]
	s_waitcnt lgkmcnt(0)
	s_barrier
	s_barrier
	s_and_saveexec_b64 s[0:1], vcc
	s_cbranch_execz .LBB21_14
; %bb.13:
	v_mov_b32_e32 v3, 0
	v_lshlrev_b64 v[0:1], 2, v[2:3]
	ds_read_b32 v3, v6
	v_mov_b32_e32 v2, s3
	v_add_co_u32_e32 v0, vcc, s2, v0
	v_addc_co_u32_e32 v1, vcc, v2, v1, vcc
	s_waitcnt lgkmcnt(0)
	global_store_dword v[0:1], v3, off
.LBB21_14:
	s_endpgm
	.section	.rodata,"a",@progbits
	.p2align	6, 0x0
	.amdhsa_kernel _Z16histogram_kernelILj65ELj5ELj65ELN6hipcub23BlockHistogramAlgorithmE0EjEvPT3_S3_
		.amdhsa_group_segment_fixed_size 260
		.amdhsa_private_segment_fixed_size 0
		.amdhsa_kernarg_size 16
		.amdhsa_user_sgpr_count 6
		.amdhsa_user_sgpr_private_segment_buffer 1
		.amdhsa_user_sgpr_dispatch_ptr 0
		.amdhsa_user_sgpr_queue_ptr 0
		.amdhsa_user_sgpr_kernarg_segment_ptr 1
		.amdhsa_user_sgpr_dispatch_id 0
		.amdhsa_user_sgpr_flat_scratch_init 0
		.amdhsa_user_sgpr_kernarg_preload_length 0
		.amdhsa_user_sgpr_kernarg_preload_offset 0
		.amdhsa_user_sgpr_private_segment_size 0
		.amdhsa_uses_dynamic_stack 0
		.amdhsa_system_sgpr_private_segment_wavefront_offset 0
		.amdhsa_system_sgpr_workgroup_id_x 1
		.amdhsa_system_sgpr_workgroup_id_y 0
		.amdhsa_system_sgpr_workgroup_id_z 0
		.amdhsa_system_sgpr_workgroup_info 0
		.amdhsa_system_vgpr_workitem_id 0
		.amdhsa_next_free_vgpr 22
		.amdhsa_next_free_sgpr 7
		.amdhsa_accum_offset 24
		.amdhsa_reserve_vcc 1
		.amdhsa_reserve_flat_scratch 0
		.amdhsa_float_round_mode_32 0
		.amdhsa_float_round_mode_16_64 0
		.amdhsa_float_denorm_mode_32 3
		.amdhsa_float_denorm_mode_16_64 3
		.amdhsa_dx10_clamp 1
		.amdhsa_ieee_mode 1
		.amdhsa_fp16_overflow 0
		.amdhsa_tg_split 0
		.amdhsa_exception_fp_ieee_invalid_op 0
		.amdhsa_exception_fp_denorm_src 0
		.amdhsa_exception_fp_ieee_div_zero 0
		.amdhsa_exception_fp_ieee_overflow 0
		.amdhsa_exception_fp_ieee_underflow 0
		.amdhsa_exception_fp_ieee_inexact 0
		.amdhsa_exception_int_div_zero 0
	.end_amdhsa_kernel
	.section	.text._Z16histogram_kernelILj65ELj5ELj65ELN6hipcub23BlockHistogramAlgorithmE0EjEvPT3_S3_,"axG",@progbits,_Z16histogram_kernelILj65ELj5ELj65ELN6hipcub23BlockHistogramAlgorithmE0EjEvPT3_S3_,comdat
.Lfunc_end21:
	.size	_Z16histogram_kernelILj65ELj5ELj65ELN6hipcub23BlockHistogramAlgorithmE0EjEvPT3_S3_, .Lfunc_end21-_Z16histogram_kernelILj65ELj5ELj65ELN6hipcub23BlockHistogramAlgorithmE0EjEvPT3_S3_
                                        ; -- End function
	.section	.AMDGPU.csdata,"",@progbits
; Kernel info:
; codeLenInByte = 1944
; NumSgprs: 11
; NumVgprs: 22
; NumAgprs: 0
; TotalNumVgprs: 22
; ScratchSize: 0
; MemoryBound: 0
; FloatMode: 240
; IeeeMode: 1
; LDSByteSize: 260 bytes/workgroup (compile time only)
; SGPRBlocks: 1
; VGPRBlocks: 2
; NumSGPRsForWavesPerEU: 11
; NumVGPRsForWavesPerEU: 22
; AccumOffset: 24
; Occupancy: 8
; WaveLimiterHint : 0
; COMPUTE_PGM_RSRC2:SCRATCH_EN: 0
; COMPUTE_PGM_RSRC2:USER_SGPR: 6
; COMPUTE_PGM_RSRC2:TRAP_HANDLER: 0
; COMPUTE_PGM_RSRC2:TGID_X_EN: 1
; COMPUTE_PGM_RSRC2:TGID_Y_EN: 0
; COMPUTE_PGM_RSRC2:TGID_Z_EN: 0
; COMPUTE_PGM_RSRC2:TIDIG_COMP_CNT: 0
; COMPUTE_PGM_RSRC3_GFX90A:ACCUM_OFFSET: 5
; COMPUTE_PGM_RSRC3_GFX90A:TG_SPLIT: 0
	.section	.text._Z16histogram_kernelILj37ELj2ELj37ELN6hipcub23BlockHistogramAlgorithmE0EjEvPT3_S3_,"axG",@progbits,_Z16histogram_kernelILj37ELj2ELj37ELN6hipcub23BlockHistogramAlgorithmE0EjEvPT3_S3_,comdat
	.protected	_Z16histogram_kernelILj37ELj2ELj37ELN6hipcub23BlockHistogramAlgorithmE0EjEvPT3_S3_ ; -- Begin function _Z16histogram_kernelILj37ELj2ELj37ELN6hipcub23BlockHistogramAlgorithmE0EjEvPT3_S3_
	.globl	_Z16histogram_kernelILj37ELj2ELj37ELN6hipcub23BlockHistogramAlgorithmE0EjEvPT3_S3_
	.p2align	8
	.type	_Z16histogram_kernelILj37ELj2ELj37ELN6hipcub23BlockHistogramAlgorithmE0EjEvPT3_S3_,@function
_Z16histogram_kernelILj37ELj2ELj37ELN6hipcub23BlockHistogramAlgorithmE0EjEvPT3_S3_: ; @_Z16histogram_kernelILj37ELj2ELj37ELN6hipcub23BlockHistogramAlgorithmE0EjEvPT3_S3_
; %bb.0:
	s_load_dwordx4 s[0:3], s[4:5], 0x0
	v_mad_u64_u32 v[2:3], s[4:5], s6, 37, v[0:1]
	v_mov_b32_e32 v6, 0
	v_lshlrev_b32_e32 v4, 1, v2
	v_mov_b32_e32 v5, v6
	v_lshlrev_b64 v[4:5], 2, v[4:5]
	s_waitcnt lgkmcnt(0)
	v_mov_b32_e32 v1, s1
	v_add_co_u32_e32 v4, vcc, s0, v4
	v_addc_co_u32_e32 v5, vcc, v1, v5, vcc
	global_load_dwordx2 v[4:5], v[4:5], off
	v_cmp_gt_u32_e32 vcc, 37, v0
	v_lshlrev_b32_e32 v8, 2, v0
	s_and_saveexec_b64 s[0:1], vcc
	s_cbranch_execz .LBB22_2
; %bb.1:
	ds_write_b32 v8, v6
.LBB22_2:
	s_or_b64 exec, exec, s[0:1]
	s_waitcnt vmcnt(0)
	v_and_b32_e32 v0, 1, v4
	v_add_co_u32_e64 v1, s[0:1], -1, v0
	v_addc_co_u32_e64 v3, s[0:1], 0, -1, s[0:1]
	v_cmp_ne_u32_e64 s[0:1], 0, v0
	v_lshlrev_b32_e32 v7, 30, v4
	v_xor_b32_e32 v0, s1, v3
	v_not_b32_e32 v3, v7
	v_xor_b32_e32 v1, s0, v1
	v_cmp_gt_i64_e64 s[0:1], 0, v[6:7]
	v_ashrrev_i32_e32 v3, 31, v3
	v_and_b32_e32 v0, exec_hi, v0
	v_xor_b32_e32 v7, s1, v3
	v_and_b32_e32 v1, exec_lo, v1
	v_xor_b32_e32 v3, s0, v3
	v_and_b32_e32 v0, v0, v7
	v_lshlrev_b32_e32 v7, 29, v4
	v_and_b32_e32 v1, v1, v3
	v_not_b32_e32 v3, v7
	v_cmp_gt_i64_e64 s[0:1], 0, v[6:7]
	v_ashrrev_i32_e32 v3, 31, v3
	v_xor_b32_e32 v7, s1, v3
	v_xor_b32_e32 v3, s0, v3
	v_and_b32_e32 v0, v0, v7
	v_lshlrev_b32_e32 v7, 28, v4
	v_and_b32_e32 v1, v1, v3
	v_not_b32_e32 v3, v7
	v_cmp_gt_i64_e64 s[0:1], 0, v[6:7]
	v_ashrrev_i32_e32 v3, 31, v3
	v_xor_b32_e32 v7, s1, v3
	;; [unrolled: 8-line block ×4, first 2 shown]
	v_xor_b32_e32 v7, s0, v1
	v_and_b32_e32 v1, v0, v6
	v_and_b32_e32 v0, v3, v7
	v_mbcnt_lo_u32_b32 v3, v0, 0
	v_mbcnt_hi_u32_b32 v3, v1, v3
	v_cmp_eq_u32_e64 s[0:1], 0, v3
	s_waitcnt lgkmcnt(0)
	; wave barrier
	s_waitcnt lgkmcnt(0)
	s_and_saveexec_b64 s[4:5], s[0:1]
	s_cbranch_execz .LBB22_4
; %bb.3:
	v_bcnt_u32_b32 v0, v0, 0
	v_lshlrev_b32_e32 v3, 2, v4
	v_bcnt_u32_b32 v0, v1, v0
	ds_add_u32 v3, v0
.LBB22_4:
	s_or_b64 exec, exec, s[4:5]
	v_and_b32_e32 v1, 1, v5
	v_add_co_u32_e64 v3, s[0:1], -1, v1
	v_addc_co_u32_e64 v4, s[0:1], 0, -1, s[0:1]
	v_cmp_ne_u32_e64 s[0:1], 0, v1
	v_xor_b32_e32 v1, s1, v4
	v_mov_b32_e32 v0, 0
	v_and_b32_e32 v4, exec_hi, v1
	v_lshlrev_b32_e32 v1, 30, v5
	v_xor_b32_e32 v3, s0, v3
	v_cmp_gt_i64_e64 s[0:1], 0, v[0:1]
	v_not_b32_e32 v1, v1
	v_ashrrev_i32_e32 v1, 31, v1
	v_and_b32_e32 v3, exec_lo, v3
	v_xor_b32_e32 v6, s1, v1
	v_xor_b32_e32 v1, s0, v1
	v_and_b32_e32 v3, v3, v1
	v_lshlrev_b32_e32 v1, 29, v5
	v_cmp_gt_i64_e64 s[0:1], 0, v[0:1]
	v_not_b32_e32 v1, v1
	v_ashrrev_i32_e32 v1, 31, v1
	v_and_b32_e32 v4, v4, v6
	v_xor_b32_e32 v6, s1, v1
	v_xor_b32_e32 v1, s0, v1
	v_and_b32_e32 v3, v3, v1
	v_lshlrev_b32_e32 v1, 28, v5
	v_cmp_gt_i64_e64 s[0:1], 0, v[0:1]
	v_not_b32_e32 v1, v1
	v_ashrrev_i32_e32 v1, 31, v1
	v_and_b32_e32 v4, v4, v6
	v_xor_b32_e32 v6, s1, v1
	v_xor_b32_e32 v1, s0, v1
	v_and_b32_e32 v3, v3, v1
	v_lshlrev_b32_e32 v1, 27, v5
	v_cmp_gt_i64_e64 s[0:1], 0, v[0:1]
	v_not_b32_e32 v1, v1
	v_ashrrev_i32_e32 v1, 31, v1
	v_and_b32_e32 v4, v4, v6
	v_xor_b32_e32 v6, s1, v1
	v_xor_b32_e32 v1, s0, v1
	v_and_b32_e32 v3, v3, v1
	v_lshlrev_b32_e32 v1, 26, v5
	v_cmp_gt_i64_e64 s[0:1], 0, v[0:1]
	v_not_b32_e32 v0, v1
	v_ashrrev_i32_e32 v0, 31, v0
	v_xor_b32_e32 v1, s1, v0
	v_xor_b32_e32 v0, s0, v0
	v_and_b32_e32 v4, v4, v6
	v_and_b32_e32 v0, v3, v0
	;; [unrolled: 1-line block ×3, first 2 shown]
	v_mbcnt_lo_u32_b32 v3, v0, 0
	v_mbcnt_hi_u32_b32 v3, v1, v3
	v_cmp_eq_u32_e64 s[0:1], 0, v3
	s_and_saveexec_b64 s[4:5], s[0:1]
	s_cbranch_execz .LBB22_6
; %bb.5:
	v_bcnt_u32_b32 v0, v0, 0
	v_lshlrev_b32_e32 v3, 2, v5
	v_bcnt_u32_b32 v0, v1, v0
	ds_add_u32 v3, v0
.LBB22_6:
	s_or_b64 exec, exec, s[4:5]
	s_waitcnt lgkmcnt(0)
	; wave barrier
	s_waitcnt lgkmcnt(0)
	s_waitcnt lgkmcnt(0)
	; wave barrier
	s_waitcnt lgkmcnt(0)
	s_and_saveexec_b64 s[0:1], vcc
	s_cbranch_execz .LBB22_8
; %bb.7:
	v_mov_b32_e32 v3, 0
	v_lshlrev_b64 v[0:1], 2, v[2:3]
	ds_read_b32 v3, v8
	v_mov_b32_e32 v2, s3
	v_add_co_u32_e32 v0, vcc, s2, v0
	v_addc_co_u32_e32 v1, vcc, v2, v1, vcc
	s_waitcnt lgkmcnt(0)
	global_store_dword v[0:1], v3, off
.LBB22_8:
	s_endpgm
	.section	.rodata,"a",@progbits
	.p2align	6, 0x0
	.amdhsa_kernel _Z16histogram_kernelILj37ELj2ELj37ELN6hipcub23BlockHistogramAlgorithmE0EjEvPT3_S3_
		.amdhsa_group_segment_fixed_size 148
		.amdhsa_private_segment_fixed_size 0
		.amdhsa_kernarg_size 16
		.amdhsa_user_sgpr_count 6
		.amdhsa_user_sgpr_private_segment_buffer 1
		.amdhsa_user_sgpr_dispatch_ptr 0
		.amdhsa_user_sgpr_queue_ptr 0
		.amdhsa_user_sgpr_kernarg_segment_ptr 1
		.amdhsa_user_sgpr_dispatch_id 0
		.amdhsa_user_sgpr_flat_scratch_init 0
		.amdhsa_user_sgpr_kernarg_preload_length 0
		.amdhsa_user_sgpr_kernarg_preload_offset 0
		.amdhsa_user_sgpr_private_segment_size 0
		.amdhsa_uses_dynamic_stack 0
		.amdhsa_system_sgpr_private_segment_wavefront_offset 0
		.amdhsa_system_sgpr_workgroup_id_x 1
		.amdhsa_system_sgpr_workgroup_id_y 0
		.amdhsa_system_sgpr_workgroup_id_z 0
		.amdhsa_system_sgpr_workgroup_info 0
		.amdhsa_system_vgpr_workitem_id 0
		.amdhsa_next_free_vgpr 9
		.amdhsa_next_free_sgpr 7
		.amdhsa_accum_offset 12
		.amdhsa_reserve_vcc 1
		.amdhsa_reserve_flat_scratch 0
		.amdhsa_float_round_mode_32 0
		.amdhsa_float_round_mode_16_64 0
		.amdhsa_float_denorm_mode_32 3
		.amdhsa_float_denorm_mode_16_64 3
		.amdhsa_dx10_clamp 1
		.amdhsa_ieee_mode 1
		.amdhsa_fp16_overflow 0
		.amdhsa_tg_split 0
		.amdhsa_exception_fp_ieee_invalid_op 0
		.amdhsa_exception_fp_denorm_src 0
		.amdhsa_exception_fp_ieee_div_zero 0
		.amdhsa_exception_fp_ieee_overflow 0
		.amdhsa_exception_fp_ieee_underflow 0
		.amdhsa_exception_fp_ieee_inexact 0
		.amdhsa_exception_int_div_zero 0
	.end_amdhsa_kernel
	.section	.text._Z16histogram_kernelILj37ELj2ELj37ELN6hipcub23BlockHistogramAlgorithmE0EjEvPT3_S3_,"axG",@progbits,_Z16histogram_kernelILj37ELj2ELj37ELN6hipcub23BlockHistogramAlgorithmE0EjEvPT3_S3_,comdat
.Lfunc_end22:
	.size	_Z16histogram_kernelILj37ELj2ELj37ELN6hipcub23BlockHistogramAlgorithmE0EjEvPT3_S3_, .Lfunc_end22-_Z16histogram_kernelILj37ELj2ELj37ELN6hipcub23BlockHistogramAlgorithmE0EjEvPT3_S3_
                                        ; -- End function
	.section	.AMDGPU.csdata,"",@progbits
; Kernel info:
; codeLenInByte = 752
; NumSgprs: 11
; NumVgprs: 9
; NumAgprs: 0
; TotalNumVgprs: 9
; ScratchSize: 0
; MemoryBound: 0
; FloatMode: 240
; IeeeMode: 1
; LDSByteSize: 148 bytes/workgroup (compile time only)
; SGPRBlocks: 1
; VGPRBlocks: 1
; NumSGPRsForWavesPerEU: 11
; NumVGPRsForWavesPerEU: 9
; AccumOffset: 12
; Occupancy: 8
; WaveLimiterHint : 0
; COMPUTE_PGM_RSRC2:SCRATCH_EN: 0
; COMPUTE_PGM_RSRC2:USER_SGPR: 6
; COMPUTE_PGM_RSRC2:TRAP_HANDLER: 0
; COMPUTE_PGM_RSRC2:TGID_X_EN: 1
; COMPUTE_PGM_RSRC2:TGID_Y_EN: 0
; COMPUTE_PGM_RSRC2:TGID_Z_EN: 0
; COMPUTE_PGM_RSRC2:TIDIG_COMP_CNT: 0
; COMPUTE_PGM_RSRC3_GFX90A:ACCUM_OFFSET: 2
; COMPUTE_PGM_RSRC3_GFX90A:TG_SPLIT: 0
	.section	.text._Z16histogram_kernelILj1024ELj1ELj1024ELN6hipcub23BlockHistogramAlgorithmE0EjEvPT3_S3_,"axG",@progbits,_Z16histogram_kernelILj1024ELj1ELj1024ELN6hipcub23BlockHistogramAlgorithmE0EjEvPT3_S3_,comdat
	.protected	_Z16histogram_kernelILj1024ELj1ELj1024ELN6hipcub23BlockHistogramAlgorithmE0EjEvPT3_S3_ ; -- Begin function _Z16histogram_kernelILj1024ELj1ELj1024ELN6hipcub23BlockHistogramAlgorithmE0EjEvPT3_S3_
	.globl	_Z16histogram_kernelILj1024ELj1ELj1024ELN6hipcub23BlockHistogramAlgorithmE0EjEvPT3_S3_
	.p2align	8
	.type	_Z16histogram_kernelILj1024ELj1ELj1024ELN6hipcub23BlockHistogramAlgorithmE0EjEvPT3_S3_,@function
_Z16histogram_kernelILj1024ELj1ELj1024ELN6hipcub23BlockHistogramAlgorithmE0EjEvPT3_S3_: ; @_Z16histogram_kernelILj1024ELj1ELj1024ELN6hipcub23BlockHistogramAlgorithmE0EjEvPT3_S3_
; %bb.0:
	s_load_dwordx4 s[16:19], s[4:5], 0x0
	v_lshl_or_b32 v4, s6, 10, v0
	v_mov_b32_e32 v5, 0
	v_lshlrev_b64 v[2:3], 2, v[4:5]
	v_lshlrev_b32_e32 v4, 2, v0
	s_waitcnt lgkmcnt(0)
	v_mov_b32_e32 v1, s17
	v_add_co_u32_e32 v6, vcc, s16, v2
	v_addc_co_u32_e32 v7, vcc, v1, v3, vcc
	global_load_dword v6, v[6:7], off
	v_mov_b32_e32 v0, v5
	v_mov_b32_e32 v8, v5
	;; [unrolled: 1-line block ×8, first 2 shown]
	ds_write_b32 v4, v5
	s_waitcnt lgkmcnt(0)
	s_barrier
	s_waitcnt vmcnt(0)
	v_and_b32_e32 v7, 1, v6
	v_add_co_u32_e32 v22, vcc, -1, v7
	v_lshlrev_b32_e32 v1, 30, v6
	v_addc_co_u32_e64 v23, s[0:1], 0, -1, vcc
	v_lshlrev_b32_e32 v9, 29, v6
	v_lshlrev_b32_e32 v13, 27, v6
	;; [unrolled: 1-line block ×3, first 2 shown]
	v_cmp_ne_u32_e32 vcc, 0, v7
	v_cmp_gt_i64_e64 s[0:1], 0, v[0:1]
	v_not_b32_e32 v0, v1
	v_lshlrev_b32_e32 v11, 28, v6
	v_cmp_gt_i64_e64 s[2:3], 0, v[8:9]
	v_not_b32_e32 v1, v9
	v_cmp_gt_i64_e64 s[6:7], 0, v[12:13]
	v_not_b32_e32 v8, v13
	v_cmp_gt_i64_e64 s[8:9], 0, v[14:15]
	v_xor_b32_e32 v13, vcc_hi, v23
	v_xor_b32_e32 v14, vcc_lo, v22
	v_ashrrev_i32_e32 v0, 31, v0
	v_lshlrev_b32_e32 v17, 25, v6
	v_not_b32_e32 v7, v11
	v_not_b32_e32 v9, v15
	v_ashrrev_i32_e32 v1, 31, v1
	v_and_b32_e32 v13, exec_hi, v13
	v_and_b32_e32 v14, exec_lo, v14
	v_xor_b32_e32 v15, s1, v0
	v_xor_b32_e32 v0, s0, v0
	v_cmp_gt_i64_e64 s[4:5], 0, v[10:11]
	v_cmp_gt_i64_e64 s[10:11], 0, v[16:17]
	v_ashrrev_i32_e32 v7, 31, v7
	v_xor_b32_e32 v16, s3, v1
	v_xor_b32_e32 v1, s2, v1
	v_and_b32_e32 v13, v13, v15
	v_and_b32_e32 v0, v14, v0
	v_lshlrev_b32_e32 v19, 24, v6
	v_not_b32_e32 v10, v17
	v_ashrrev_i32_e32 v8, 31, v8
	v_xor_b32_e32 v17, s5, v7
	v_xor_b32_e32 v7, s4, v7
	v_and_b32_e32 v13, v13, v16
	v_and_b32_e32 v0, v0, v1
	v_cmp_gt_i64_e64 s[12:13], 0, v[18:19]
	v_ashrrev_i32_e32 v9, 31, v9
	v_xor_b32_e32 v18, s7, v8
	v_xor_b32_e32 v8, s6, v8
	v_and_b32_e32 v1, v13, v17
	v_and_b32_e32 v0, v0, v7
	v_lshlrev_b32_e32 v21, 23, v6
	v_not_b32_e32 v11, v19
	v_ashrrev_i32_e32 v10, 31, v10
	v_xor_b32_e32 v19, s9, v9
	v_xor_b32_e32 v9, s8, v9
	v_and_b32_e32 v1, v1, v18
	v_and_b32_e32 v0, v0, v8
	v_cmp_gt_i64_e64 s[14:15], 0, v[20:21]
	v_not_b32_e32 v12, v21
	v_ashrrev_i32_e32 v11, 31, v11
	v_xor_b32_e32 v20, s11, v10
	v_xor_b32_e32 v10, s10, v10
	v_and_b32_e32 v1, v1, v19
	v_and_b32_e32 v0, v0, v9
	v_ashrrev_i32_e32 v12, 31, v12
	v_xor_b32_e32 v21, s13, v11
	v_xor_b32_e32 v11, s12, v11
	v_and_b32_e32 v1, v1, v20
	v_and_b32_e32 v0, v0, v10
	v_xor_b32_e32 v22, s15, v12
	v_xor_b32_e32 v12, s14, v12
	v_and_b32_e32 v1, v1, v21
	v_and_b32_e32 v0, v0, v11
	;; [unrolled: 1-line block ×4, first 2 shown]
	v_lshlrev_b32_e32 v1, 22, v6
	v_mov_b32_e32 v0, v5
	v_cmp_gt_i64_e32 vcc, 0, v[0:1]
	v_not_b32_e32 v0, v1
	v_ashrrev_i32_e32 v0, 31, v0
	v_xor_b32_e32 v1, vcc_hi, v0
	v_xor_b32_e32 v0, vcc_lo, v0
	v_and_b32_e32 v0, v8, v0
	v_and_b32_e32 v1, v7, v1
	v_mbcnt_lo_u32_b32 v5, v0, 0
	v_mbcnt_hi_u32_b32 v5, v1, v5
	v_cmp_eq_u32_e32 vcc, 0, v5
	s_and_saveexec_b64 s[0:1], vcc
	s_cbranch_execz .LBB23_2
; %bb.1:
	v_bcnt_u32_b32 v0, v0, 0
	v_lshlrev_b32_e32 v5, 2, v6
	v_bcnt_u32_b32 v0, v1, v0
	ds_add_u32 v5, v0
.LBB23_2:
	s_or_b64 exec, exec, s[0:1]
	s_waitcnt lgkmcnt(0)
	s_barrier
	s_barrier
	ds_read_b32 v4, v4
	v_mov_b32_e32 v1, s19
	v_add_co_u32_e32 v0, vcc, s18, v2
	v_addc_co_u32_e32 v1, vcc, v1, v3, vcc
	s_waitcnt lgkmcnt(0)
	global_store_dword v[0:1], v4, off
	s_endpgm
	.section	.rodata,"a",@progbits
	.p2align	6, 0x0
	.amdhsa_kernel _Z16histogram_kernelILj1024ELj1ELj1024ELN6hipcub23BlockHistogramAlgorithmE0EjEvPT3_S3_
		.amdhsa_group_segment_fixed_size 4096
		.amdhsa_private_segment_fixed_size 0
		.amdhsa_kernarg_size 16
		.amdhsa_user_sgpr_count 6
		.amdhsa_user_sgpr_private_segment_buffer 1
		.amdhsa_user_sgpr_dispatch_ptr 0
		.amdhsa_user_sgpr_queue_ptr 0
		.amdhsa_user_sgpr_kernarg_segment_ptr 1
		.amdhsa_user_sgpr_dispatch_id 0
		.amdhsa_user_sgpr_flat_scratch_init 0
		.amdhsa_user_sgpr_kernarg_preload_length 0
		.amdhsa_user_sgpr_kernarg_preload_offset 0
		.amdhsa_user_sgpr_private_segment_size 0
		.amdhsa_uses_dynamic_stack 0
		.amdhsa_system_sgpr_private_segment_wavefront_offset 0
		.amdhsa_system_sgpr_workgroup_id_x 1
		.amdhsa_system_sgpr_workgroup_id_y 0
		.amdhsa_system_sgpr_workgroup_id_z 0
		.amdhsa_system_sgpr_workgroup_info 0
		.amdhsa_system_vgpr_workitem_id 0
		.amdhsa_next_free_vgpr 24
		.amdhsa_next_free_sgpr 20
		.amdhsa_accum_offset 24
		.amdhsa_reserve_vcc 1
		.amdhsa_reserve_flat_scratch 0
		.amdhsa_float_round_mode_32 0
		.amdhsa_float_round_mode_16_64 0
		.amdhsa_float_denorm_mode_32 3
		.amdhsa_float_denorm_mode_16_64 3
		.amdhsa_dx10_clamp 1
		.amdhsa_ieee_mode 1
		.amdhsa_fp16_overflow 0
		.amdhsa_tg_split 0
		.amdhsa_exception_fp_ieee_invalid_op 0
		.amdhsa_exception_fp_denorm_src 0
		.amdhsa_exception_fp_ieee_div_zero 0
		.amdhsa_exception_fp_ieee_overflow 0
		.amdhsa_exception_fp_ieee_underflow 0
		.amdhsa_exception_fp_ieee_inexact 0
		.amdhsa_exception_int_div_zero 0
	.end_amdhsa_kernel
	.section	.text._Z16histogram_kernelILj1024ELj1ELj1024ELN6hipcub23BlockHistogramAlgorithmE0EjEvPT3_S3_,"axG",@progbits,_Z16histogram_kernelILj1024ELj1ELj1024ELN6hipcub23BlockHistogramAlgorithmE0EjEvPT3_S3_,comdat
.Lfunc_end23:
	.size	_Z16histogram_kernelILj1024ELj1ELj1024ELN6hipcub23BlockHistogramAlgorithmE0EjEvPT3_S3_, .Lfunc_end23-_Z16histogram_kernelILj1024ELj1ELj1024ELN6hipcub23BlockHistogramAlgorithmE0EjEvPT3_S3_
                                        ; -- End function
	.section	.AMDGPU.csdata,"",@progbits
; Kernel info:
; codeLenInByte = 576
; NumSgprs: 24
; NumVgprs: 24
; NumAgprs: 0
; TotalNumVgprs: 24
; ScratchSize: 0
; MemoryBound: 0
; FloatMode: 240
; IeeeMode: 1
; LDSByteSize: 4096 bytes/workgroup (compile time only)
; SGPRBlocks: 2
; VGPRBlocks: 2
; NumSGPRsForWavesPerEU: 24
; NumVGPRsForWavesPerEU: 24
; AccumOffset: 24
; Occupancy: 8
; WaveLimiterHint : 0
; COMPUTE_PGM_RSRC2:SCRATCH_EN: 0
; COMPUTE_PGM_RSRC2:USER_SGPR: 6
; COMPUTE_PGM_RSRC2:TRAP_HANDLER: 0
; COMPUTE_PGM_RSRC2:TGID_X_EN: 1
; COMPUTE_PGM_RSRC2:TGID_Y_EN: 0
; COMPUTE_PGM_RSRC2:TGID_Z_EN: 0
; COMPUTE_PGM_RSRC2:TIDIG_COMP_CNT: 0
; COMPUTE_PGM_RSRC3_GFX90A:ACCUM_OFFSET: 5
; COMPUTE_PGM_RSRC3_GFX90A:TG_SPLIT: 0
	.section	.text._Z16histogram_kernelILj512ELj4ELj512ELN6hipcub23BlockHistogramAlgorithmE0EjEvPT3_S3_,"axG",@progbits,_Z16histogram_kernelILj512ELj4ELj512ELN6hipcub23BlockHistogramAlgorithmE0EjEvPT3_S3_,comdat
	.protected	_Z16histogram_kernelILj512ELj4ELj512ELN6hipcub23BlockHistogramAlgorithmE0EjEvPT3_S3_ ; -- Begin function _Z16histogram_kernelILj512ELj4ELj512ELN6hipcub23BlockHistogramAlgorithmE0EjEvPT3_S3_
	.globl	_Z16histogram_kernelILj512ELj4ELj512ELN6hipcub23BlockHistogramAlgorithmE0EjEvPT3_S3_
	.p2align	8
	.type	_Z16histogram_kernelILj512ELj4ELj512ELN6hipcub23BlockHistogramAlgorithmE0EjEvPT3_S3_,@function
_Z16histogram_kernelILj512ELj4ELj512ELN6hipcub23BlockHistogramAlgorithmE0EjEvPT3_S3_: ; @_Z16histogram_kernelILj512ELj4ELj512ELN6hipcub23BlockHistogramAlgorithmE0EjEvPT3_S3_
; %bb.0:
	s_load_dwordx4 s[0:3], s[4:5], 0x0
	v_lshlrev_b32_e32 v8, 2, v0
	v_mov_b32_e32 v6, 0
	v_lshl_or_b32 v2, s6, 11, v8
	v_mov_b32_e32 v3, v6
	v_lshlrev_b64 v[2:3], 2, v[2:3]
	s_waitcnt lgkmcnt(0)
	v_mov_b32_e32 v1, s1
	v_add_co_u32_e32 v2, vcc, s0, v2
	v_addc_co_u32_e32 v3, vcc, v1, v3, vcc
	global_load_dwordx4 v[2:5], v[2:3], off
	s_movk_i32 s0, 0x200
	v_cmp_gt_u32_e32 vcc, s0, v0
	s_and_saveexec_b64 s[0:1], vcc
	s_cbranch_execz .LBB24_2
; %bb.1:
	ds_write_b32 v8, v6
.LBB24_2:
	s_or_b64 exec, exec, s[0:1]
	s_waitcnt vmcnt(0)
	v_and_b32_e32 v1, 1, v2
	v_add_co_u32_e64 v7, s[0:1], -1, v1
	v_addc_co_u32_e64 v9, s[0:1], 0, -1, s[0:1]
	v_cmp_ne_u32_e64 s[0:1], 0, v1
	v_xor_b32_e32 v7, s0, v7
	v_xor_b32_e32 v1, s1, v9
	v_and_b32_e32 v9, exec_lo, v7
	v_lshlrev_b32_e32 v7, 30, v2
	v_cmp_gt_i64_e64 s[0:1], 0, v[6:7]
	v_not_b32_e32 v7, v7
	v_ashrrev_i32_e32 v7, 31, v7
	v_xor_b32_e32 v10, s1, v7
	v_xor_b32_e32 v7, s0, v7
	v_and_b32_e32 v9, v9, v7
	v_lshlrev_b32_e32 v7, 29, v2
	v_cmp_gt_i64_e64 s[0:1], 0, v[6:7]
	v_not_b32_e32 v7, v7
	v_and_b32_e32 v1, exec_hi, v1
	v_ashrrev_i32_e32 v7, 31, v7
	v_and_b32_e32 v1, v1, v10
	v_xor_b32_e32 v10, s1, v7
	v_xor_b32_e32 v7, s0, v7
	v_and_b32_e32 v9, v9, v7
	v_lshlrev_b32_e32 v7, 28, v2
	v_cmp_gt_i64_e64 s[0:1], 0, v[6:7]
	v_not_b32_e32 v7, v7
	v_ashrrev_i32_e32 v7, 31, v7
	v_and_b32_e32 v1, v1, v10
	v_xor_b32_e32 v10, s1, v7
	v_xor_b32_e32 v7, s0, v7
	v_and_b32_e32 v9, v9, v7
	v_lshlrev_b32_e32 v7, 27, v2
	v_cmp_gt_i64_e64 s[0:1], 0, v[6:7]
	v_not_b32_e32 v7, v7
	;; [unrolled: 8-line block ×6, first 2 shown]
	v_ashrrev_i32_e32 v6, 31, v6
	v_xor_b32_e32 v7, s1, v6
	v_xor_b32_e32 v6, s0, v6
	v_and_b32_e32 v1, v1, v10
	v_and_b32_e32 v6, v9, v6
	;; [unrolled: 1-line block ×3, first 2 shown]
	v_mbcnt_lo_u32_b32 v7, v6, 0
	v_mbcnt_hi_u32_b32 v7, v1, v7
	v_cmp_eq_u32_e64 s[0:1], 0, v7
	s_waitcnt lgkmcnt(0)
	s_barrier
	s_and_saveexec_b64 s[4:5], s[0:1]
	s_cbranch_execz .LBB24_4
; %bb.3:
	v_bcnt_u32_b32 v6, v6, 0
	v_lshlrev_b32_e32 v2, 2, v2
	v_bcnt_u32_b32 v1, v1, v6
	ds_add_u32 v2, v1
.LBB24_4:
	s_or_b64 exec, exec, s[4:5]
	v_and_b32_e32 v1, 1, v3
	v_add_co_u32_e64 v2, s[0:1], -1, v1
	v_addc_co_u32_e64 v7, s[0:1], 0, -1, s[0:1]
	v_cmp_ne_u32_e64 s[0:1], 0, v1
	v_mov_b32_e32 v6, 0
	v_xor_b32_e32 v1, s1, v7
	v_lshlrev_b32_e32 v7, 30, v3
	v_xor_b32_e32 v2, s0, v2
	v_cmp_gt_i64_e64 s[0:1], 0, v[6:7]
	v_not_b32_e32 v7, v7
	v_ashrrev_i32_e32 v7, 31, v7
	v_and_b32_e32 v2, exec_lo, v2
	v_xor_b32_e32 v9, s1, v7
	v_xor_b32_e32 v7, s0, v7
	v_and_b32_e32 v2, v2, v7
	v_lshlrev_b32_e32 v7, 29, v3
	v_cmp_gt_i64_e64 s[0:1], 0, v[6:7]
	v_not_b32_e32 v7, v7
	v_and_b32_e32 v1, exec_hi, v1
	v_ashrrev_i32_e32 v7, 31, v7
	v_and_b32_e32 v1, v1, v9
	v_xor_b32_e32 v9, s1, v7
	v_xor_b32_e32 v7, s0, v7
	v_and_b32_e32 v2, v2, v7
	v_lshlrev_b32_e32 v7, 28, v3
	v_cmp_gt_i64_e64 s[0:1], 0, v[6:7]
	v_not_b32_e32 v7, v7
	v_ashrrev_i32_e32 v7, 31, v7
	v_and_b32_e32 v1, v1, v9
	v_xor_b32_e32 v9, s1, v7
	v_xor_b32_e32 v7, s0, v7
	v_and_b32_e32 v2, v2, v7
	v_lshlrev_b32_e32 v7, 27, v3
	v_cmp_gt_i64_e64 s[0:1], 0, v[6:7]
	v_not_b32_e32 v7, v7
	;; [unrolled: 8-line block ×6, first 2 shown]
	v_ashrrev_i32_e32 v7, 31, v7
	v_and_b32_e32 v1, v1, v9
	v_xor_b32_e32 v9, s1, v7
	v_xor_b32_e32 v7, s0, v7
	v_and_b32_e32 v2, v2, v7
	v_and_b32_e32 v1, v1, v9
	v_mbcnt_lo_u32_b32 v7, v2, 0
	v_mbcnt_hi_u32_b32 v7, v1, v7
	v_cmp_eq_u32_e64 s[0:1], 0, v7
	s_and_saveexec_b64 s[4:5], s[0:1]
	s_cbranch_execz .LBB24_6
; %bb.5:
	v_bcnt_u32_b32 v2, v2, 0
	v_lshlrev_b32_e32 v3, 2, v3
	v_bcnt_u32_b32 v1, v1, v2
	ds_add_u32 v3, v1
.LBB24_6:
	s_or_b64 exec, exec, s[4:5]
	v_and_b32_e32 v1, 1, v4
	v_add_co_u32_e64 v2, s[0:1], -1, v1
	v_addc_co_u32_e64 v3, s[0:1], 0, -1, s[0:1]
	v_cmp_ne_u32_e64 s[0:1], 0, v1
	v_lshlrev_b32_e32 v7, 30, v4
	v_xor_b32_e32 v1, s1, v3
	v_not_b32_e32 v3, v7
	v_xor_b32_e32 v2, s0, v2
	v_cmp_gt_i64_e64 s[0:1], 0, v[6:7]
	v_ashrrev_i32_e32 v3, 31, v3
	v_and_b32_e32 v1, exec_hi, v1
	v_xor_b32_e32 v7, s1, v3
	v_and_b32_e32 v2, exec_lo, v2
	v_xor_b32_e32 v3, s0, v3
	v_and_b32_e32 v1, v1, v7
	v_lshlrev_b32_e32 v7, 29, v4
	v_and_b32_e32 v2, v2, v3
	v_not_b32_e32 v3, v7
	v_cmp_gt_i64_e64 s[0:1], 0, v[6:7]
	v_ashrrev_i32_e32 v3, 31, v3
	v_xor_b32_e32 v7, s1, v3
	v_xor_b32_e32 v3, s0, v3
	v_and_b32_e32 v1, v1, v7
	v_lshlrev_b32_e32 v7, 28, v4
	v_and_b32_e32 v2, v2, v3
	v_not_b32_e32 v3, v7
	v_cmp_gt_i64_e64 s[0:1], 0, v[6:7]
	v_ashrrev_i32_e32 v3, 31, v3
	v_xor_b32_e32 v7, s1, v3
	;; [unrolled: 8-line block ×7, first 2 shown]
	v_xor_b32_e32 v3, s0, v3
	v_and_b32_e32 v2, v2, v3
	v_and_b32_e32 v1, v1, v6
	v_mbcnt_lo_u32_b32 v3, v2, 0
	v_mbcnt_hi_u32_b32 v3, v1, v3
	v_cmp_eq_u32_e64 s[0:1], 0, v3
	s_and_saveexec_b64 s[4:5], s[0:1]
	s_cbranch_execz .LBB24_8
; %bb.7:
	v_bcnt_u32_b32 v2, v2, 0
	v_lshlrev_b32_e32 v3, 2, v4
	v_bcnt_u32_b32 v1, v1, v2
	ds_add_u32 v3, v1
.LBB24_8:
	s_or_b64 exec, exec, s[4:5]
	v_and_b32_e32 v1, 1, v5
	v_add_co_u32_e64 v3, s[0:1], -1, v1
	v_addc_co_u32_e64 v4, s[0:1], 0, -1, s[0:1]
	v_cmp_ne_u32_e64 s[0:1], 0, v1
	v_xor_b32_e32 v3, s0, v3
	v_mov_b32_e32 v2, 0
	v_xor_b32_e32 v1, s1, v4
	v_and_b32_e32 v4, exec_lo, v3
	v_lshlrev_b32_e32 v3, 30, v5
	v_cmp_gt_i64_e64 s[0:1], 0, v[2:3]
	v_not_b32_e32 v3, v3
	v_ashrrev_i32_e32 v3, 31, v3
	v_xor_b32_e32 v6, s1, v3
	v_xor_b32_e32 v3, s0, v3
	v_and_b32_e32 v4, v4, v3
	v_lshlrev_b32_e32 v3, 29, v5
	v_cmp_gt_i64_e64 s[0:1], 0, v[2:3]
	v_not_b32_e32 v3, v3
	v_and_b32_e32 v1, exec_hi, v1
	v_ashrrev_i32_e32 v3, 31, v3
	v_and_b32_e32 v1, v1, v6
	v_xor_b32_e32 v6, s1, v3
	v_xor_b32_e32 v3, s0, v3
	v_and_b32_e32 v4, v4, v3
	v_lshlrev_b32_e32 v3, 28, v5
	v_cmp_gt_i64_e64 s[0:1], 0, v[2:3]
	v_not_b32_e32 v3, v3
	v_ashrrev_i32_e32 v3, 31, v3
	v_and_b32_e32 v1, v1, v6
	v_xor_b32_e32 v6, s1, v3
	v_xor_b32_e32 v3, s0, v3
	v_and_b32_e32 v4, v4, v3
	v_lshlrev_b32_e32 v3, 27, v5
	v_cmp_gt_i64_e64 s[0:1], 0, v[2:3]
	v_not_b32_e32 v3, v3
	;; [unrolled: 8-line block ×6, first 2 shown]
	v_ashrrev_i32_e32 v2, 31, v2
	v_xor_b32_e32 v3, s1, v2
	v_xor_b32_e32 v2, s0, v2
	v_and_b32_e32 v1, v1, v6
	v_and_b32_e32 v2, v4, v2
	v_and_b32_e32 v1, v1, v3
	v_mbcnt_lo_u32_b32 v3, v2, 0
	v_mbcnt_hi_u32_b32 v3, v1, v3
	v_cmp_eq_u32_e64 s[0:1], 0, v3
	s_and_saveexec_b64 s[4:5], s[0:1]
	s_cbranch_execz .LBB24_10
; %bb.9:
	v_bcnt_u32_b32 v2, v2, 0
	v_lshlrev_b32_e32 v3, 2, v5
	v_bcnt_u32_b32 v1, v1, v2
	ds_add_u32 v3, v1
.LBB24_10:
	s_or_b64 exec, exec, s[4:5]
	s_waitcnt lgkmcnt(0)
	s_barrier
	s_barrier
	s_and_saveexec_b64 s[0:1], vcc
	s_cbranch_execz .LBB24_12
; %bb.11:
	ds_read_b32 v3, v8
	v_lshl_or_b32 v0, s6, 9, v0
	v_mov_b32_e32 v1, 0
	v_lshlrev_b64 v[0:1], 2, v[0:1]
	v_mov_b32_e32 v2, s3
	v_add_co_u32_e32 v0, vcc, s2, v0
	v_addc_co_u32_e32 v1, vcc, v2, v1, vcc
	s_waitcnt lgkmcnt(0)
	global_store_dword v[0:1], v3, off
.LBB24_12:
	s_endpgm
	.section	.rodata,"a",@progbits
	.p2align	6, 0x0
	.amdhsa_kernel _Z16histogram_kernelILj512ELj4ELj512ELN6hipcub23BlockHistogramAlgorithmE0EjEvPT3_S3_
		.amdhsa_group_segment_fixed_size 2048
		.amdhsa_private_segment_fixed_size 0
		.amdhsa_kernarg_size 16
		.amdhsa_user_sgpr_count 6
		.amdhsa_user_sgpr_private_segment_buffer 1
		.amdhsa_user_sgpr_dispatch_ptr 0
		.amdhsa_user_sgpr_queue_ptr 0
		.amdhsa_user_sgpr_kernarg_segment_ptr 1
		.amdhsa_user_sgpr_dispatch_id 0
		.amdhsa_user_sgpr_flat_scratch_init 0
		.amdhsa_user_sgpr_kernarg_preload_length 0
		.amdhsa_user_sgpr_kernarg_preload_offset 0
		.amdhsa_user_sgpr_private_segment_size 0
		.amdhsa_uses_dynamic_stack 0
		.amdhsa_system_sgpr_private_segment_wavefront_offset 0
		.amdhsa_system_sgpr_workgroup_id_x 1
		.amdhsa_system_sgpr_workgroup_id_y 0
		.amdhsa_system_sgpr_workgroup_id_z 0
		.amdhsa_system_sgpr_workgroup_info 0
		.amdhsa_system_vgpr_workitem_id 0
		.amdhsa_next_free_vgpr 11
		.amdhsa_next_free_sgpr 7
		.amdhsa_accum_offset 12
		.amdhsa_reserve_vcc 1
		.amdhsa_reserve_flat_scratch 0
		.amdhsa_float_round_mode_32 0
		.amdhsa_float_round_mode_16_64 0
		.amdhsa_float_denorm_mode_32 3
		.amdhsa_float_denorm_mode_16_64 3
		.amdhsa_dx10_clamp 1
		.amdhsa_ieee_mode 1
		.amdhsa_fp16_overflow 0
		.amdhsa_tg_split 0
		.amdhsa_exception_fp_ieee_invalid_op 0
		.amdhsa_exception_fp_denorm_src 0
		.amdhsa_exception_fp_ieee_div_zero 0
		.amdhsa_exception_fp_ieee_overflow 0
		.amdhsa_exception_fp_ieee_underflow 0
		.amdhsa_exception_fp_ieee_inexact 0
		.amdhsa_exception_int_div_zero 0
	.end_amdhsa_kernel
	.section	.text._Z16histogram_kernelILj512ELj4ELj512ELN6hipcub23BlockHistogramAlgorithmE0EjEvPT3_S3_,"axG",@progbits,_Z16histogram_kernelILj512ELj4ELj512ELN6hipcub23BlockHistogramAlgorithmE0EjEvPT3_S3_,comdat
.Lfunc_end24:
	.size	_Z16histogram_kernelILj512ELj4ELj512ELN6hipcub23BlockHistogramAlgorithmE0EjEvPT3_S3_, .Lfunc_end24-_Z16histogram_kernelILj512ELj4ELj512ELN6hipcub23BlockHistogramAlgorithmE0EjEvPT3_S3_
                                        ; -- End function
	.section	.AMDGPU.csdata,"",@progbits
; Kernel info:
; codeLenInByte = 1768
; NumSgprs: 11
; NumVgprs: 11
; NumAgprs: 0
; TotalNumVgprs: 11
; ScratchSize: 0
; MemoryBound: 0
; FloatMode: 240
; IeeeMode: 1
; LDSByteSize: 2048 bytes/workgroup (compile time only)
; SGPRBlocks: 1
; VGPRBlocks: 1
; NumSGPRsForWavesPerEU: 11
; NumVGPRsForWavesPerEU: 11
; AccumOffset: 12
; Occupancy: 8
; WaveLimiterHint : 0
; COMPUTE_PGM_RSRC2:SCRATCH_EN: 0
; COMPUTE_PGM_RSRC2:USER_SGPR: 6
; COMPUTE_PGM_RSRC2:TRAP_HANDLER: 0
; COMPUTE_PGM_RSRC2:TGID_X_EN: 1
; COMPUTE_PGM_RSRC2:TGID_Y_EN: 0
; COMPUTE_PGM_RSRC2:TGID_Z_EN: 0
; COMPUTE_PGM_RSRC2:TIDIG_COMP_CNT: 0
; COMPUTE_PGM_RSRC3_GFX90A:ACCUM_OFFSET: 2
; COMPUTE_PGM_RSRC3_GFX90A:TG_SPLIT: 0
	.section	.text._Z16histogram_kernelILj256ELj3ELj512ELN6hipcub23BlockHistogramAlgorithmE0EjEvPT3_S3_,"axG",@progbits,_Z16histogram_kernelILj256ELj3ELj512ELN6hipcub23BlockHistogramAlgorithmE0EjEvPT3_S3_,comdat
	.protected	_Z16histogram_kernelILj256ELj3ELj512ELN6hipcub23BlockHistogramAlgorithmE0EjEvPT3_S3_ ; -- Begin function _Z16histogram_kernelILj256ELj3ELj512ELN6hipcub23BlockHistogramAlgorithmE0EjEvPT3_S3_
	.globl	_Z16histogram_kernelILj256ELj3ELj512ELN6hipcub23BlockHistogramAlgorithmE0EjEvPT3_S3_
	.p2align	8
	.type	_Z16histogram_kernelILj256ELj3ELj512ELN6hipcub23BlockHistogramAlgorithmE0EjEvPT3_S3_,@function
_Z16histogram_kernelILj256ELj3ELj512ELN6hipcub23BlockHistogramAlgorithmE0EjEvPT3_S3_: ; @_Z16histogram_kernelILj256ELj3ELj512ELN6hipcub23BlockHistogramAlgorithmE0EjEvPT3_S3_
; %bb.0:
	s_load_dwordx4 s[8:11], s[4:5], 0x0
	v_lshl_or_b32 v1, s6, 8, v0
	v_lshl_add_u32 v2, v1, 1, v1
	v_mov_b32_e32 v3, 0
	v_lshlrev_b64 v[4:5], 2, v[2:3]
	s_waitcnt lgkmcnt(0)
	v_mov_b32_e32 v1, s9
	v_add_co_u32_e32 v4, vcc, s8, v4
	v_add_u32_e32 v6, 1, v2
	v_mov_b32_e32 v7, v3
	v_addc_co_u32_e32 v5, vcc, v1, v5, vcc
	v_lshlrev_b64 v[6:7], 2, v[6:7]
	v_add_co_u32_e32 v10, vcc, s8, v6
	v_add_u32_e32 v2, 2, v2
	v_addc_co_u32_e32 v11, vcc, v1, v7, vcc
	v_lshlrev_b64 v[6:7], 2, v[2:3]
	v_add_co_u32_e32 v12, vcc, s8, v6
	v_addc_co_u32_e32 v13, vcc, v1, v7, vcc
	global_load_dword v8, v[4:5], off
	global_load_dword v7, v[10:11], off
	;; [unrolled: 1-line block ×3, first 2 shown]
	s_movk_i32 s0, 0x200
	v_cmp_gt_u32_e64 s[0:1], s0, v0
	v_lshlrev_b32_e32 v5, 2, v0
	s_and_saveexec_b64 s[2:3], s[0:1]
	s_cbranch_execz .LBB25_2
; %bb.1:
	ds_write_b32 v5, v3
.LBB25_2:
	s_or_b64 exec, exec, s[2:3]
	s_movk_i32 s2, 0x100
	v_cmp_gt_u32_e32 vcc, s2, v0
	s_and_saveexec_b64 s[2:3], vcc
	s_cbranch_execz .LBB25_4
; %bb.3:
	v_mov_b32_e32 v1, 0
	ds_write_b32 v5, v1 offset:1024
.LBB25_4:
	s_or_b64 exec, exec, s[2:3]
	s_waitcnt vmcnt(2)
	v_and_b32_e32 v1, 1, v8
	v_add_co_u32_e64 v3, s[2:3], -1, v1
	v_addc_co_u32_e64 v4, s[2:3], 0, -1, s[2:3]
	v_cmp_ne_u32_e64 s[2:3], 0, v1
	v_xor_b32_e32 v3, s2, v3
	v_mov_b32_e32 v2, 0
	v_xor_b32_e32 v1, s3, v4
	v_and_b32_e32 v4, exec_lo, v3
	v_lshlrev_b32_e32 v3, 30, v8
	v_cmp_gt_i64_e64 s[2:3], 0, v[2:3]
	v_not_b32_e32 v3, v3
	v_ashrrev_i32_e32 v3, 31, v3
	v_xor_b32_e32 v9, s3, v3
	v_xor_b32_e32 v3, s2, v3
	v_and_b32_e32 v4, v4, v3
	v_lshlrev_b32_e32 v3, 29, v8
	v_cmp_gt_i64_e64 s[2:3], 0, v[2:3]
	v_not_b32_e32 v3, v3
	v_and_b32_e32 v1, exec_hi, v1
	v_ashrrev_i32_e32 v3, 31, v3
	v_and_b32_e32 v1, v1, v9
	v_xor_b32_e32 v9, s3, v3
	v_xor_b32_e32 v3, s2, v3
	v_and_b32_e32 v4, v4, v3
	v_lshlrev_b32_e32 v3, 28, v8
	v_cmp_gt_i64_e64 s[2:3], 0, v[2:3]
	v_not_b32_e32 v3, v3
	v_ashrrev_i32_e32 v3, 31, v3
	v_and_b32_e32 v1, v1, v9
	v_xor_b32_e32 v9, s3, v3
	v_xor_b32_e32 v3, s2, v3
	v_and_b32_e32 v4, v4, v3
	v_lshlrev_b32_e32 v3, 27, v8
	v_cmp_gt_i64_e64 s[2:3], 0, v[2:3]
	v_not_b32_e32 v3, v3
	;; [unrolled: 8-line block ×6, first 2 shown]
	v_ashrrev_i32_e32 v3, 31, v3
	v_and_b32_e32 v1, v1, v9
	v_xor_b32_e32 v9, s3, v3
	v_xor_b32_e32 v3, s2, v3
	v_and_b32_e32 v4, v4, v3
	v_and_b32_e32 v1, v1, v9
	v_mbcnt_lo_u32_b32 v3, v4, 0
	v_mbcnt_hi_u32_b32 v3, v1, v3
	v_cmp_eq_u32_e64 s[2:3], 0, v3
	s_waitcnt lgkmcnt(0)
	s_barrier
	s_and_saveexec_b64 s[4:5], s[2:3]
	s_cbranch_execz .LBB25_6
; %bb.5:
	v_bcnt_u32_b32 v4, v4, 0
	v_lshlrev_b32_e32 v3, 2, v8
	v_bcnt_u32_b32 v1, v1, v4
	ds_add_u32 v3, v1
.LBB25_6:
	s_or_b64 exec, exec, s[4:5]
	s_waitcnt vmcnt(1)
	v_and_b32_e32 v1, 1, v7
	v_add_co_u32_e64 v3, s[2:3], -1, v1
	v_addc_co_u32_e64 v4, s[2:3], 0, -1, s[2:3]
	v_cmp_ne_u32_e64 s[2:3], 0, v1
	v_xor_b32_e32 v3, s2, v3
	v_xor_b32_e32 v1, s3, v4
	v_and_b32_e32 v4, exec_lo, v3
	v_lshlrev_b32_e32 v3, 30, v7
	v_cmp_gt_i64_e64 s[2:3], 0, v[2:3]
	v_not_b32_e32 v3, v3
	v_ashrrev_i32_e32 v3, 31, v3
	v_xor_b32_e32 v8, s3, v3
	v_xor_b32_e32 v3, s2, v3
	v_and_b32_e32 v4, v4, v3
	v_lshlrev_b32_e32 v3, 29, v7
	v_cmp_gt_i64_e64 s[2:3], 0, v[2:3]
	v_not_b32_e32 v3, v3
	v_and_b32_e32 v1, exec_hi, v1
	v_ashrrev_i32_e32 v3, 31, v3
	v_and_b32_e32 v1, v1, v8
	v_xor_b32_e32 v8, s3, v3
	v_xor_b32_e32 v3, s2, v3
	v_and_b32_e32 v4, v4, v3
	v_lshlrev_b32_e32 v3, 28, v7
	v_cmp_gt_i64_e64 s[2:3], 0, v[2:3]
	v_not_b32_e32 v3, v3
	v_ashrrev_i32_e32 v3, 31, v3
	v_and_b32_e32 v1, v1, v8
	v_xor_b32_e32 v8, s3, v3
	v_xor_b32_e32 v3, s2, v3
	v_and_b32_e32 v4, v4, v3
	v_lshlrev_b32_e32 v3, 27, v7
	v_cmp_gt_i64_e64 s[2:3], 0, v[2:3]
	v_not_b32_e32 v3, v3
	;; [unrolled: 8-line block ×6, first 2 shown]
	v_ashrrev_i32_e32 v2, 31, v2
	v_xor_b32_e32 v3, s3, v2
	v_xor_b32_e32 v2, s2, v2
	v_and_b32_e32 v1, v1, v8
	v_and_b32_e32 v2, v4, v2
	;; [unrolled: 1-line block ×3, first 2 shown]
	v_mbcnt_lo_u32_b32 v3, v2, 0
	v_mbcnt_hi_u32_b32 v3, v1, v3
	v_cmp_eq_u32_e64 s[2:3], 0, v3
	s_and_saveexec_b64 s[4:5], s[2:3]
	s_cbranch_execz .LBB25_8
; %bb.7:
	v_bcnt_u32_b32 v2, v2, 0
	v_lshlrev_b32_e32 v3, 2, v7
	v_bcnt_u32_b32 v1, v1, v2
	ds_add_u32 v3, v1
.LBB25_8:
	s_or_b64 exec, exec, s[4:5]
	s_waitcnt vmcnt(0)
	v_and_b32_e32 v1, 1, v6
	v_add_co_u32_e64 v3, s[2:3], -1, v1
	v_addc_co_u32_e64 v4, s[2:3], 0, -1, s[2:3]
	v_cmp_ne_u32_e64 s[2:3], 0, v1
	v_xor_b32_e32 v3, s2, v3
	v_mov_b32_e32 v2, 0
	v_xor_b32_e32 v1, s3, v4
	v_and_b32_e32 v4, exec_lo, v3
	v_lshlrev_b32_e32 v3, 30, v6
	v_cmp_gt_i64_e64 s[2:3], 0, v[2:3]
	v_not_b32_e32 v3, v3
	v_ashrrev_i32_e32 v3, 31, v3
	v_xor_b32_e32 v7, s3, v3
	v_xor_b32_e32 v3, s2, v3
	v_and_b32_e32 v4, v4, v3
	v_lshlrev_b32_e32 v3, 29, v6
	v_cmp_gt_i64_e64 s[2:3], 0, v[2:3]
	v_not_b32_e32 v3, v3
	v_and_b32_e32 v1, exec_hi, v1
	v_ashrrev_i32_e32 v3, 31, v3
	v_and_b32_e32 v1, v1, v7
	v_xor_b32_e32 v7, s3, v3
	v_xor_b32_e32 v3, s2, v3
	v_and_b32_e32 v4, v4, v3
	v_lshlrev_b32_e32 v3, 28, v6
	v_cmp_gt_i64_e64 s[2:3], 0, v[2:3]
	v_not_b32_e32 v3, v3
	v_ashrrev_i32_e32 v3, 31, v3
	v_and_b32_e32 v1, v1, v7
	v_xor_b32_e32 v7, s3, v3
	v_xor_b32_e32 v3, s2, v3
	v_and_b32_e32 v4, v4, v3
	v_lshlrev_b32_e32 v3, 27, v6
	v_cmp_gt_i64_e64 s[2:3], 0, v[2:3]
	v_not_b32_e32 v3, v3
	v_ashrrev_i32_e32 v3, 31, v3
	v_and_b32_e32 v1, v1, v7
	v_xor_b32_e32 v7, s3, v3
	v_xor_b32_e32 v3, s2, v3
	v_and_b32_e32 v4, v4, v3
	v_lshlrev_b32_e32 v3, 26, v6
	v_cmp_gt_i64_e64 s[2:3], 0, v[2:3]
	v_not_b32_e32 v3, v3
	v_ashrrev_i32_e32 v3, 31, v3
	v_and_b32_e32 v1, v1, v7
	v_xor_b32_e32 v7, s3, v3
	v_xor_b32_e32 v3, s2, v3
	v_and_b32_e32 v4, v4, v3
	v_lshlrev_b32_e32 v3, 25, v6
	v_cmp_gt_i64_e64 s[2:3], 0, v[2:3]
	v_not_b32_e32 v3, v3
	v_ashrrev_i32_e32 v3, 31, v3
	v_and_b32_e32 v1, v1, v7
	v_xor_b32_e32 v7, s3, v3
	v_xor_b32_e32 v3, s2, v3
	v_and_b32_e32 v4, v4, v3
	v_lshlrev_b32_e32 v3, 24, v6
	v_cmp_gt_i64_e64 s[2:3], 0, v[2:3]
	v_not_b32_e32 v3, v3
	v_ashrrev_i32_e32 v3, 31, v3
	v_and_b32_e32 v1, v1, v7
	v_xor_b32_e32 v7, s3, v3
	v_xor_b32_e32 v3, s2, v3
	v_and_b32_e32 v4, v4, v3
	v_lshlrev_b32_e32 v3, 23, v6
	v_cmp_gt_i64_e64 s[2:3], 0, v[2:3]
	v_not_b32_e32 v2, v3
	v_ashrrev_i32_e32 v2, 31, v2
	v_xor_b32_e32 v3, s3, v2
	v_xor_b32_e32 v2, s2, v2
	v_and_b32_e32 v1, v1, v7
	v_and_b32_e32 v2, v4, v2
	;; [unrolled: 1-line block ×3, first 2 shown]
	v_mbcnt_lo_u32_b32 v3, v2, 0
	v_mbcnt_hi_u32_b32 v3, v1, v3
	v_cmp_eq_u32_e64 s[2:3], 0, v3
	s_and_saveexec_b64 s[4:5], s[2:3]
	s_cbranch_execz .LBB25_10
; %bb.9:
	v_bcnt_u32_b32 v2, v2, 0
	v_lshlrev_b32_e32 v3, 2, v6
	v_bcnt_u32_b32 v1, v1, v2
	ds_add_u32 v3, v1
.LBB25_10:
	s_or_b64 exec, exec, s[4:5]
	s_lshl_b32 s4, s6, 9
	v_mov_b32_e32 v1, s4
	s_waitcnt lgkmcnt(0)
	s_barrier
	s_barrier
	s_and_saveexec_b64 s[2:3], s[0:1]
	s_cbranch_execnz .LBB25_13
; %bb.11:
	s_or_b64 exec, exec, s[2:3]
	s_and_saveexec_b64 s[0:1], vcc
	s_cbranch_execnz .LBB25_14
.LBB25_12:
	s_endpgm
.LBB25_13:
	ds_read_b32 v4, v5
	v_or_b32_e32 v2, s4, v0
	v_mov_b32_e32 v3, 0
	v_lshlrev_b64 v[2:3], 2, v[2:3]
	s_or_b32 s5, s4, 0x100
	v_mov_b32_e32 v1, s11
	v_add_co_u32_e64 v2, s[0:1], s10, v2
	v_addc_co_u32_e64 v3, s[0:1], v1, v3, s[0:1]
	v_mov_b32_e32 v1, s5
	s_waitcnt lgkmcnt(0)
	global_store_dword v[2:3], v4, off
	s_or_b64 exec, exec, s[2:3]
	s_and_saveexec_b64 s[0:1], vcc
	s_cbranch_execz .LBB25_12
.LBB25_14:
	ds_read_b32 v3, v5 offset:1024
	v_add_u32_e32 v0, v1, v0
	v_mov_b32_e32 v1, 0
	v_lshlrev_b64 v[0:1], 2, v[0:1]
	v_mov_b32_e32 v2, s11
	v_add_co_u32_e32 v0, vcc, s10, v0
	v_addc_co_u32_e32 v1, vcc, v2, v1, vcc
	s_waitcnt lgkmcnt(0)
	global_store_dword v[0:1], v3, off
	s_endpgm
	.section	.rodata,"a",@progbits
	.p2align	6, 0x0
	.amdhsa_kernel _Z16histogram_kernelILj256ELj3ELj512ELN6hipcub23BlockHistogramAlgorithmE0EjEvPT3_S3_
		.amdhsa_group_segment_fixed_size 2048
		.amdhsa_private_segment_fixed_size 0
		.amdhsa_kernarg_size 16
		.amdhsa_user_sgpr_count 6
		.amdhsa_user_sgpr_private_segment_buffer 1
		.amdhsa_user_sgpr_dispatch_ptr 0
		.amdhsa_user_sgpr_queue_ptr 0
		.amdhsa_user_sgpr_kernarg_segment_ptr 1
		.amdhsa_user_sgpr_dispatch_id 0
		.amdhsa_user_sgpr_flat_scratch_init 0
		.amdhsa_user_sgpr_kernarg_preload_length 0
		.amdhsa_user_sgpr_kernarg_preload_offset 0
		.amdhsa_user_sgpr_private_segment_size 0
		.amdhsa_uses_dynamic_stack 0
		.amdhsa_system_sgpr_private_segment_wavefront_offset 0
		.amdhsa_system_sgpr_workgroup_id_x 1
		.amdhsa_system_sgpr_workgroup_id_y 0
		.amdhsa_system_sgpr_workgroup_id_z 0
		.amdhsa_system_sgpr_workgroup_info 0
		.amdhsa_system_vgpr_workitem_id 0
		.amdhsa_next_free_vgpr 14
		.amdhsa_next_free_sgpr 12
		.amdhsa_accum_offset 16
		.amdhsa_reserve_vcc 1
		.amdhsa_reserve_flat_scratch 0
		.amdhsa_float_round_mode_32 0
		.amdhsa_float_round_mode_16_64 0
		.amdhsa_float_denorm_mode_32 3
		.amdhsa_float_denorm_mode_16_64 3
		.amdhsa_dx10_clamp 1
		.amdhsa_ieee_mode 1
		.amdhsa_fp16_overflow 0
		.amdhsa_tg_split 0
		.amdhsa_exception_fp_ieee_invalid_op 0
		.amdhsa_exception_fp_denorm_src 0
		.amdhsa_exception_fp_ieee_div_zero 0
		.amdhsa_exception_fp_ieee_overflow 0
		.amdhsa_exception_fp_ieee_underflow 0
		.amdhsa_exception_fp_ieee_inexact 0
		.amdhsa_exception_int_div_zero 0
	.end_amdhsa_kernel
	.section	.text._Z16histogram_kernelILj256ELj3ELj512ELN6hipcub23BlockHistogramAlgorithmE0EjEvPT3_S3_,"axG",@progbits,_Z16histogram_kernelILj256ELj3ELj512ELN6hipcub23BlockHistogramAlgorithmE0EjEvPT3_S3_,comdat
.Lfunc_end25:
	.size	_Z16histogram_kernelILj256ELj3ELj512ELN6hipcub23BlockHistogramAlgorithmE0EjEvPT3_S3_, .Lfunc_end25-_Z16histogram_kernelILj256ELj3ELj512ELN6hipcub23BlockHistogramAlgorithmE0EjEvPT3_S3_
                                        ; -- End function
	.section	.AMDGPU.csdata,"",@progbits
; Kernel info:
; codeLenInByte = 1580
; NumSgprs: 16
; NumVgprs: 14
; NumAgprs: 0
; TotalNumVgprs: 14
; ScratchSize: 0
; MemoryBound: 0
; FloatMode: 240
; IeeeMode: 1
; LDSByteSize: 2048 bytes/workgroup (compile time only)
; SGPRBlocks: 1
; VGPRBlocks: 1
; NumSGPRsForWavesPerEU: 16
; NumVGPRsForWavesPerEU: 14
; AccumOffset: 16
; Occupancy: 8
; WaveLimiterHint : 0
; COMPUTE_PGM_RSRC2:SCRATCH_EN: 0
; COMPUTE_PGM_RSRC2:USER_SGPR: 6
; COMPUTE_PGM_RSRC2:TRAP_HANDLER: 0
; COMPUTE_PGM_RSRC2:TGID_X_EN: 1
; COMPUTE_PGM_RSRC2:TGID_Y_EN: 0
; COMPUTE_PGM_RSRC2:TGID_Z_EN: 0
; COMPUTE_PGM_RSRC2:TIDIG_COMP_CNT: 0
; COMPUTE_PGM_RSRC3_GFX90A:ACCUM_OFFSET: 3
; COMPUTE_PGM_RSRC3_GFX90A:TG_SPLIT: 0
	.section	.text._Z16histogram_kernelILj32ELj2ELj64ELN6hipcub23BlockHistogramAlgorithmE0EjEvPT3_S3_,"axG",@progbits,_Z16histogram_kernelILj32ELj2ELj64ELN6hipcub23BlockHistogramAlgorithmE0EjEvPT3_S3_,comdat
	.protected	_Z16histogram_kernelILj32ELj2ELj64ELN6hipcub23BlockHistogramAlgorithmE0EjEvPT3_S3_ ; -- Begin function _Z16histogram_kernelILj32ELj2ELj64ELN6hipcub23BlockHistogramAlgorithmE0EjEvPT3_S3_
	.globl	_Z16histogram_kernelILj32ELj2ELj64ELN6hipcub23BlockHistogramAlgorithmE0EjEvPT3_S3_
	.p2align	8
	.type	_Z16histogram_kernelILj32ELj2ELj64ELN6hipcub23BlockHistogramAlgorithmE0EjEvPT3_S3_,@function
_Z16histogram_kernelILj32ELj2ELj64ELN6hipcub23BlockHistogramAlgorithmE0EjEvPT3_S3_: ; @_Z16histogram_kernelILj32ELj2ELj64ELN6hipcub23BlockHistogramAlgorithmE0EjEvPT3_S3_
; %bb.0:
	s_load_dwordx4 s[8:11], s[4:5], 0x0
	s_lshl_b32 s6, s6, 6
	v_lshl_or_b32 v4, v0, 1, s6
	v_mov_b32_e32 v5, 0
	v_lshlrev_b64 v[2:3], 2, v[4:5]
	s_waitcnt lgkmcnt(0)
	v_mov_b32_e32 v1, s9
	v_add_co_u32_e32 v2, vcc, s8, v2
	v_addc_co_u32_e32 v3, vcc, v1, v3, vcc
	global_load_dwordx2 v[2:3], v[2:3], off
	v_cmp_gt_u32_e64 s[0:1], 64, v0
	v_lshlrev_b32_e32 v7, 2, v0
	s_and_saveexec_b64 s[2:3], s[0:1]
	s_cbranch_execz .LBB26_2
; %bb.1:
	ds_write_b32 v7, v5
.LBB26_2:
	s_or_b64 exec, exec, s[2:3]
	v_cmp_gt_u32_e32 vcc, 32, v0
	s_and_saveexec_b64 s[2:3], vcc
	s_cbranch_execz .LBB26_4
; %bb.3:
	v_mov_b32_e32 v1, 0
	ds_write_b32 v7, v1 offset:128
.LBB26_4:
	s_or_b64 exec, exec, s[2:3]
	s_waitcnt vmcnt(0)
	v_and_b32_e32 v1, 1, v2
	v_add_co_u32_e64 v5, s[2:3], -1, v1
	v_addc_co_u32_e64 v6, s[2:3], 0, -1, s[2:3]
	v_cmp_ne_u32_e64 s[2:3], 0, v1
	v_xor_b32_e32 v5, s2, v5
	v_mov_b32_e32 v4, 0
	v_xor_b32_e32 v1, s3, v6
	v_and_b32_e32 v6, exec_lo, v5
	v_lshlrev_b32_e32 v5, 30, v2
	v_cmp_gt_i64_e64 s[2:3], 0, v[4:5]
	v_not_b32_e32 v5, v5
	v_ashrrev_i32_e32 v5, 31, v5
	v_xor_b32_e32 v8, s3, v5
	v_xor_b32_e32 v5, s2, v5
	v_and_b32_e32 v6, v6, v5
	v_lshlrev_b32_e32 v5, 29, v2
	v_cmp_gt_i64_e64 s[2:3], 0, v[4:5]
	v_not_b32_e32 v5, v5
	v_and_b32_e32 v1, exec_hi, v1
	v_ashrrev_i32_e32 v5, 31, v5
	v_and_b32_e32 v1, v1, v8
	v_xor_b32_e32 v8, s3, v5
	v_xor_b32_e32 v5, s2, v5
	v_and_b32_e32 v6, v6, v5
	v_lshlrev_b32_e32 v5, 28, v2
	v_cmp_gt_i64_e64 s[2:3], 0, v[4:5]
	v_not_b32_e32 v5, v5
	v_ashrrev_i32_e32 v5, 31, v5
	v_and_b32_e32 v1, v1, v8
	v_xor_b32_e32 v8, s3, v5
	v_xor_b32_e32 v5, s2, v5
	v_and_b32_e32 v6, v6, v5
	v_lshlrev_b32_e32 v5, 27, v2
	v_cmp_gt_i64_e64 s[2:3], 0, v[4:5]
	v_not_b32_e32 v5, v5
	;; [unrolled: 8-line block ×3, first 2 shown]
	v_ashrrev_i32_e32 v5, 31, v5
	v_and_b32_e32 v1, v1, v8
	v_xor_b32_e32 v8, s3, v5
	v_xor_b32_e32 v5, s2, v5
	v_and_b32_e32 v6, v6, v5
	v_and_b32_e32 v1, v1, v8
	v_mbcnt_lo_u32_b32 v5, v6, 0
	v_mbcnt_hi_u32_b32 v5, v1, v5
	v_cmp_eq_u32_e64 s[2:3], 0, v5
	s_waitcnt lgkmcnt(0)
	; wave barrier
	s_waitcnt lgkmcnt(0)
	s_and_saveexec_b64 s[4:5], s[2:3]
	s_cbranch_execz .LBB26_6
; %bb.5:
	v_bcnt_u32_b32 v5, v6, 0
	v_lshlrev_b32_e32 v2, 2, v2
	v_bcnt_u32_b32 v1, v1, v5
	ds_add_u32 v2, v1
.LBB26_6:
	s_or_b64 exec, exec, s[4:5]
	v_and_b32_e32 v1, 1, v3
	v_add_co_u32_e64 v2, s[2:3], -1, v1
	v_addc_co_u32_e64 v5, s[2:3], 0, -1, s[2:3]
	v_cmp_ne_u32_e64 s[2:3], 0, v1
	v_xor_b32_e32 v1, s3, v5
	v_lshlrev_b32_e32 v5, 30, v3
	v_xor_b32_e32 v2, s2, v2
	v_cmp_gt_i64_e64 s[2:3], 0, v[4:5]
	v_not_b32_e32 v5, v5
	v_ashrrev_i32_e32 v5, 31, v5
	v_and_b32_e32 v2, exec_lo, v2
	v_xor_b32_e32 v6, s3, v5
	v_xor_b32_e32 v5, s2, v5
	v_and_b32_e32 v2, v2, v5
	v_lshlrev_b32_e32 v5, 29, v3
	v_cmp_gt_i64_e64 s[2:3], 0, v[4:5]
	v_not_b32_e32 v5, v5
	v_and_b32_e32 v1, exec_hi, v1
	v_ashrrev_i32_e32 v5, 31, v5
	v_and_b32_e32 v1, v1, v6
	v_xor_b32_e32 v6, s3, v5
	v_xor_b32_e32 v5, s2, v5
	v_and_b32_e32 v2, v2, v5
	v_lshlrev_b32_e32 v5, 28, v3
	v_cmp_gt_i64_e64 s[2:3], 0, v[4:5]
	v_not_b32_e32 v5, v5
	v_ashrrev_i32_e32 v5, 31, v5
	v_and_b32_e32 v1, v1, v6
	v_xor_b32_e32 v6, s3, v5
	v_xor_b32_e32 v5, s2, v5
	v_and_b32_e32 v2, v2, v5
	v_lshlrev_b32_e32 v5, 27, v3
	v_cmp_gt_i64_e64 s[2:3], 0, v[4:5]
	v_not_b32_e32 v5, v5
	;; [unrolled: 8-line block ×3, first 2 shown]
	v_ashrrev_i32_e32 v4, 31, v4
	v_xor_b32_e32 v5, s3, v4
	v_xor_b32_e32 v4, s2, v4
	v_and_b32_e32 v1, v1, v6
	v_and_b32_e32 v2, v2, v4
	;; [unrolled: 1-line block ×3, first 2 shown]
	v_mbcnt_lo_u32_b32 v4, v2, 0
	v_mbcnt_hi_u32_b32 v4, v1, v4
	v_cmp_eq_u32_e64 s[2:3], 0, v4
	s_and_saveexec_b64 s[4:5], s[2:3]
	s_cbranch_execz .LBB26_8
; %bb.7:
	v_bcnt_u32_b32 v2, v2, 0
	v_lshlrev_b32_e32 v3, 2, v3
	v_bcnt_u32_b32 v1, v1, v2
	ds_add_u32 v3, v1
.LBB26_8:
	s_or_b64 exec, exec, s[4:5]
	v_mov_b32_e32 v1, s6
	s_waitcnt lgkmcnt(0)
	; wave barrier
	s_waitcnt lgkmcnt(0)
	s_waitcnt lgkmcnt(0)
	; wave barrier
	s_waitcnt lgkmcnt(0)
	s_and_saveexec_b64 s[2:3], s[0:1]
	s_cbranch_execnz .LBB26_11
; %bb.9:
	s_or_b64 exec, exec, s[2:3]
	s_and_saveexec_b64 s[0:1], vcc
	s_cbranch_execnz .LBB26_12
.LBB26_10:
	s_endpgm
.LBB26_11:
	ds_read_b32 v4, v7
	v_or_b32_e32 v2, s6, v0
	v_mov_b32_e32 v3, 0
	v_lshlrev_b64 v[2:3], 2, v[2:3]
	s_or_b32 s4, s6, 32
	v_mov_b32_e32 v1, s11
	v_add_co_u32_e64 v2, s[0:1], s10, v2
	v_addc_co_u32_e64 v3, s[0:1], v1, v3, s[0:1]
	v_mov_b32_e32 v1, s4
	s_waitcnt lgkmcnt(0)
	global_store_dword v[2:3], v4, off
	s_or_b64 exec, exec, s[2:3]
	s_and_saveexec_b64 s[0:1], vcc
	s_cbranch_execz .LBB26_10
.LBB26_12:
	ds_read_b32 v3, v7 offset:128
	v_add_u32_e32 v0, v1, v0
	v_mov_b32_e32 v1, 0
	v_lshlrev_b64 v[0:1], 2, v[0:1]
	v_mov_b32_e32 v2, s11
	v_add_co_u32_e32 v0, vcc, s10, v0
	v_addc_co_u32_e32 v1, vcc, v2, v1, vcc
	s_waitcnt lgkmcnt(0)
	global_store_dword v[0:1], v3, off
	s_endpgm
	.section	.rodata,"a",@progbits
	.p2align	6, 0x0
	.amdhsa_kernel _Z16histogram_kernelILj32ELj2ELj64ELN6hipcub23BlockHistogramAlgorithmE0EjEvPT3_S3_
		.amdhsa_group_segment_fixed_size 256
		.amdhsa_private_segment_fixed_size 0
		.amdhsa_kernarg_size 16
		.amdhsa_user_sgpr_count 6
		.amdhsa_user_sgpr_private_segment_buffer 1
		.amdhsa_user_sgpr_dispatch_ptr 0
		.amdhsa_user_sgpr_queue_ptr 0
		.amdhsa_user_sgpr_kernarg_segment_ptr 1
		.amdhsa_user_sgpr_dispatch_id 0
		.amdhsa_user_sgpr_flat_scratch_init 0
		.amdhsa_user_sgpr_kernarg_preload_length 0
		.amdhsa_user_sgpr_kernarg_preload_offset 0
		.amdhsa_user_sgpr_private_segment_size 0
		.amdhsa_uses_dynamic_stack 0
		.amdhsa_system_sgpr_private_segment_wavefront_offset 0
		.amdhsa_system_sgpr_workgroup_id_x 1
		.amdhsa_system_sgpr_workgroup_id_y 0
		.amdhsa_system_sgpr_workgroup_id_z 0
		.amdhsa_system_sgpr_workgroup_info 0
		.amdhsa_system_vgpr_workitem_id 0
		.amdhsa_next_free_vgpr 9
		.amdhsa_next_free_sgpr 12
		.amdhsa_accum_offset 12
		.amdhsa_reserve_vcc 1
		.amdhsa_reserve_flat_scratch 0
		.amdhsa_float_round_mode_32 0
		.amdhsa_float_round_mode_16_64 0
		.amdhsa_float_denorm_mode_32 3
		.amdhsa_float_denorm_mode_16_64 3
		.amdhsa_dx10_clamp 1
		.amdhsa_ieee_mode 1
		.amdhsa_fp16_overflow 0
		.amdhsa_tg_split 0
		.amdhsa_exception_fp_ieee_invalid_op 0
		.amdhsa_exception_fp_denorm_src 0
		.amdhsa_exception_fp_ieee_div_zero 0
		.amdhsa_exception_fp_ieee_overflow 0
		.amdhsa_exception_fp_ieee_underflow 0
		.amdhsa_exception_fp_ieee_inexact 0
		.amdhsa_exception_int_div_zero 0
	.end_amdhsa_kernel
	.section	.text._Z16histogram_kernelILj32ELj2ELj64ELN6hipcub23BlockHistogramAlgorithmE0EjEvPT3_S3_,"axG",@progbits,_Z16histogram_kernelILj32ELj2ELj64ELN6hipcub23BlockHistogramAlgorithmE0EjEvPT3_S3_,comdat
.Lfunc_end26:
	.size	_Z16histogram_kernelILj32ELj2ELj64ELN6hipcub23BlockHistogramAlgorithmE0EjEvPT3_S3_, .Lfunc_end26-_Z16histogram_kernelILj32ELj2ELj64ELN6hipcub23BlockHistogramAlgorithmE0EjEvPT3_S3_
                                        ; -- End function
	.section	.AMDGPU.csdata,"",@progbits
; Kernel info:
; codeLenInByte = 880
; NumSgprs: 16
; NumVgprs: 9
; NumAgprs: 0
; TotalNumVgprs: 9
; ScratchSize: 0
; MemoryBound: 0
; FloatMode: 240
; IeeeMode: 1
; LDSByteSize: 256 bytes/workgroup (compile time only)
; SGPRBlocks: 1
; VGPRBlocks: 1
; NumSGPRsForWavesPerEU: 16
; NumVGPRsForWavesPerEU: 9
; AccumOffset: 12
; Occupancy: 8
; WaveLimiterHint : 0
; COMPUTE_PGM_RSRC2:SCRATCH_EN: 0
; COMPUTE_PGM_RSRC2:USER_SGPR: 6
; COMPUTE_PGM_RSRC2:TRAP_HANDLER: 0
; COMPUTE_PGM_RSRC2:TGID_X_EN: 1
; COMPUTE_PGM_RSRC2:TGID_Y_EN: 0
; COMPUTE_PGM_RSRC2:TGID_Z_EN: 0
; COMPUTE_PGM_RSRC2:TIDIG_COMP_CNT: 0
; COMPUTE_PGM_RSRC3_GFX90A:ACCUM_OFFSET: 2
; COMPUTE_PGM_RSRC3_GFX90A:TG_SPLIT: 0
	.section	.text._Z16histogram_kernelILj6ELj32ELj18ELN6hipcub23BlockHistogramAlgorithmE0EjEvPT3_S3_,"axG",@progbits,_Z16histogram_kernelILj6ELj32ELj18ELN6hipcub23BlockHistogramAlgorithmE0EjEvPT3_S3_,comdat
	.protected	_Z16histogram_kernelILj6ELj32ELj18ELN6hipcub23BlockHistogramAlgorithmE0EjEvPT3_S3_ ; -- Begin function _Z16histogram_kernelILj6ELj32ELj18ELN6hipcub23BlockHistogramAlgorithmE0EjEvPT3_S3_
	.globl	_Z16histogram_kernelILj6ELj32ELj18ELN6hipcub23BlockHistogramAlgorithmE0EjEvPT3_S3_
	.p2align	8
	.type	_Z16histogram_kernelILj6ELj32ELj18ELN6hipcub23BlockHistogramAlgorithmE0EjEvPT3_S3_,@function
_Z16histogram_kernelILj6ELj32ELj18ELN6hipcub23BlockHistogramAlgorithmE0EjEvPT3_S3_: ; @_Z16histogram_kernelILj6ELj32ELj18ELN6hipcub23BlockHistogramAlgorithmE0EjEvPT3_S3_
; %bb.0:
	s_load_dwordx4 s[8:11], s[4:5], 0x0
	s_mul_i32 s0, s6, 6
	v_add_lshl_u32 v34, s0, v0, 5
	v_mov_b32_e32 v35, 0
	v_lshlrev_b64 v[2:3], 2, v[34:35]
	s_waitcnt lgkmcnt(0)
	v_mov_b32_e32 v1, s9
	v_add_co_u32_e32 v36, vcc, s8, v2
	v_addc_co_u32_e32 v37, vcc, v1, v3, vcc
	global_load_dwordx4 v[18:21], v[36:37], off offset:48
	global_load_dwordx4 v[22:25], v[36:37], off offset:32
	;; [unrolled: 1-line block ×3, first 2 shown]
	global_load_dwordx4 v[30:33], v[36:37], off
	global_load_dwordx4 v[2:5], v[36:37], off offset:112
	global_load_dwordx4 v[6:9], v[36:37], off offset:96
	;; [unrolled: 1-line block ×4, first 2 shown]
	v_cmp_gt_u32_e64 s[2:3], 18, v0
	v_lshlrev_b32_e32 v37, 2, v0
	s_and_saveexec_b64 s[0:1], s[2:3]
	s_cbranch_execnz .LBB27_72
; %bb.1:
	s_or_b64 exec, exec, s[0:1]
	v_cmp_gt_u32_e64 s[0:1], 12, v0
	s_and_saveexec_b64 s[4:5], s[0:1]
	s_cbranch_execnz .LBB27_73
.LBB27_2:
	s_or_b64 exec, exec, s[4:5]
	v_cmp_gt_u32_e32 vcc, 6, v0
	s_and_saveexec_b64 s[4:5], vcc
	s_cbranch_execz .LBB27_4
.LBB27_3:
	v_mov_b32_e32 v1, 0
	ds_write_b32 v37, v1 offset:48
.LBB27_4:
	s_or_b64 exec, exec, s[4:5]
	s_waitcnt vmcnt(4)
	v_and_b32_e32 v1, 1, v30
	v_add_co_u32_e64 v35, s[4:5], -1, v1
	v_addc_co_u32_e64 v36, s[4:5], 0, -1, s[4:5]
	v_cmp_ne_u32_e64 s[4:5], 0, v1
	v_xor_b32_e32 v35, s4, v35
	v_mov_b32_e32 v34, 0
	v_xor_b32_e32 v1, s5, v36
	v_and_b32_e32 v36, exec_lo, v35
	v_lshlrev_b32_e32 v35, 30, v30
	v_cmp_gt_i64_e64 s[4:5], 0, v[34:35]
	v_not_b32_e32 v35, v35
	v_ashrrev_i32_e32 v35, 31, v35
	v_xor_b32_e32 v38, s5, v35
	v_xor_b32_e32 v35, s4, v35
	v_and_b32_e32 v36, v36, v35
	v_lshlrev_b32_e32 v35, 29, v30
	v_cmp_gt_i64_e64 s[4:5], 0, v[34:35]
	v_not_b32_e32 v35, v35
	v_and_b32_e32 v1, exec_hi, v1
	v_ashrrev_i32_e32 v35, 31, v35
	v_and_b32_e32 v1, v1, v38
	v_xor_b32_e32 v38, s5, v35
	v_xor_b32_e32 v35, s4, v35
	v_and_b32_e32 v36, v36, v35
	v_lshlrev_b32_e32 v35, 28, v30
	v_cmp_gt_i64_e64 s[4:5], 0, v[34:35]
	v_not_b32_e32 v35, v35
	v_ashrrev_i32_e32 v35, 31, v35
	v_and_b32_e32 v1, v1, v38
	v_xor_b32_e32 v38, s5, v35
	v_xor_b32_e32 v35, s4, v35
	v_and_b32_e32 v36, v36, v35
	v_lshlrev_b32_e32 v35, 27, v30
	v_cmp_gt_i64_e64 s[4:5], 0, v[34:35]
	v_not_b32_e32 v35, v35
	v_ashrrev_i32_e32 v35, 31, v35
	v_and_b32_e32 v1, v1, v38
	v_xor_b32_e32 v38, s5, v35
	v_xor_b32_e32 v35, s4, v35
	v_and_b32_e32 v36, v36, v35
	v_and_b32_e32 v1, v1, v38
	v_mbcnt_lo_u32_b32 v35, v36, 0
	v_mbcnt_hi_u32_b32 v35, v1, v35
	v_cmp_eq_u32_e64 s[4:5], 0, v35
	s_waitcnt lgkmcnt(0)
	; wave barrier
	s_waitcnt lgkmcnt(0)
	s_and_saveexec_b64 s[8:9], s[4:5]
	s_cbranch_execz .LBB27_6
; %bb.5:
	v_bcnt_u32_b32 v35, v36, 0
	v_lshlrev_b32_e32 v30, 2, v30
	v_bcnt_u32_b32 v1, v1, v35
	ds_add_u32 v30, v1
.LBB27_6:
	s_or_b64 exec, exec, s[8:9]
	v_and_b32_e32 v1, 1, v31
	v_add_co_u32_e64 v30, s[4:5], -1, v1
	v_addc_co_u32_e64 v35, s[4:5], 0, -1, s[4:5]
	v_cmp_ne_u32_e64 s[4:5], 0, v1
	v_xor_b32_e32 v1, s5, v35
	v_lshlrev_b32_e32 v35, 30, v31
	v_xor_b32_e32 v30, s4, v30
	v_cmp_gt_i64_e64 s[4:5], 0, v[34:35]
	v_not_b32_e32 v35, v35
	v_ashrrev_i32_e32 v35, 31, v35
	v_and_b32_e32 v30, exec_lo, v30
	v_xor_b32_e32 v36, s5, v35
	v_xor_b32_e32 v35, s4, v35
	v_and_b32_e32 v30, v30, v35
	v_lshlrev_b32_e32 v35, 29, v31
	v_cmp_gt_i64_e64 s[4:5], 0, v[34:35]
	v_not_b32_e32 v35, v35
	v_and_b32_e32 v1, exec_hi, v1
	v_ashrrev_i32_e32 v35, 31, v35
	v_and_b32_e32 v1, v1, v36
	v_xor_b32_e32 v36, s5, v35
	v_xor_b32_e32 v35, s4, v35
	v_and_b32_e32 v30, v30, v35
	v_lshlrev_b32_e32 v35, 28, v31
	v_cmp_gt_i64_e64 s[4:5], 0, v[34:35]
	v_not_b32_e32 v35, v35
	v_ashrrev_i32_e32 v35, 31, v35
	v_and_b32_e32 v1, v1, v36
	v_xor_b32_e32 v36, s5, v35
	v_xor_b32_e32 v35, s4, v35
	v_and_b32_e32 v30, v30, v35
	v_lshlrev_b32_e32 v35, 27, v31
	v_cmp_gt_i64_e64 s[4:5], 0, v[34:35]
	v_not_b32_e32 v34, v35
	v_ashrrev_i32_e32 v34, 31, v34
	v_xor_b32_e32 v35, s5, v34
	v_xor_b32_e32 v34, s4, v34
	v_and_b32_e32 v1, v1, v36
	v_and_b32_e32 v30, v30, v34
	;; [unrolled: 1-line block ×3, first 2 shown]
	v_mbcnt_lo_u32_b32 v34, v30, 0
	v_mbcnt_hi_u32_b32 v34, v1, v34
	v_cmp_eq_u32_e64 s[4:5], 0, v34
	s_and_saveexec_b64 s[8:9], s[4:5]
	s_cbranch_execz .LBB27_8
; %bb.7:
	v_bcnt_u32_b32 v30, v30, 0
	v_lshlrev_b32_e32 v31, 2, v31
	v_bcnt_u32_b32 v1, v1, v30
	ds_add_u32 v31, v1
.LBB27_8:
	s_or_b64 exec, exec, s[8:9]
	v_and_b32_e32 v1, 1, v32
	v_add_co_u32_e64 v31, s[4:5], -1, v1
	v_addc_co_u32_e64 v34, s[4:5], 0, -1, s[4:5]
	v_cmp_ne_u32_e64 s[4:5], 0, v1
	v_xor_b32_e32 v31, s4, v31
	v_mov_b32_e32 v30, 0
	v_xor_b32_e32 v1, s5, v34
	v_and_b32_e32 v34, exec_lo, v31
	v_lshlrev_b32_e32 v31, 30, v32
	v_cmp_gt_i64_e64 s[4:5], 0, v[30:31]
	v_not_b32_e32 v31, v31
	v_ashrrev_i32_e32 v31, 31, v31
	v_xor_b32_e32 v35, s5, v31
	v_xor_b32_e32 v31, s4, v31
	v_and_b32_e32 v34, v34, v31
	v_lshlrev_b32_e32 v31, 29, v32
	v_cmp_gt_i64_e64 s[4:5], 0, v[30:31]
	v_not_b32_e32 v31, v31
	v_and_b32_e32 v1, exec_hi, v1
	v_ashrrev_i32_e32 v31, 31, v31
	v_and_b32_e32 v1, v1, v35
	v_xor_b32_e32 v35, s5, v31
	v_xor_b32_e32 v31, s4, v31
	v_and_b32_e32 v34, v34, v31
	v_lshlrev_b32_e32 v31, 28, v32
	v_cmp_gt_i64_e64 s[4:5], 0, v[30:31]
	v_not_b32_e32 v31, v31
	v_ashrrev_i32_e32 v31, 31, v31
	v_and_b32_e32 v1, v1, v35
	v_xor_b32_e32 v35, s5, v31
	v_xor_b32_e32 v31, s4, v31
	v_and_b32_e32 v34, v34, v31
	v_lshlrev_b32_e32 v31, 27, v32
	v_cmp_gt_i64_e64 s[4:5], 0, v[30:31]
	v_not_b32_e32 v31, v31
	v_ashrrev_i32_e32 v31, 31, v31
	v_and_b32_e32 v1, v1, v35
	v_xor_b32_e32 v35, s5, v31
	v_xor_b32_e32 v31, s4, v31
	v_and_b32_e32 v34, v34, v31
	v_and_b32_e32 v1, v1, v35
	v_mbcnt_lo_u32_b32 v31, v34, 0
	v_mbcnt_hi_u32_b32 v31, v1, v31
	v_cmp_eq_u32_e64 s[4:5], 0, v31
	s_and_saveexec_b64 s[8:9], s[4:5]
	s_cbranch_execz .LBB27_10
; %bb.9:
	v_lshlrev_b32_e32 v31, 2, v32
	v_bcnt_u32_b32 v32, v34, 0
	v_bcnt_u32_b32 v1, v1, v32
	ds_add_u32 v31, v1
.LBB27_10:
	s_or_b64 exec, exec, s[8:9]
	v_and_b32_e32 v1, 1, v33
	v_add_co_u32_e64 v31, s[4:5], -1, v1
	v_addc_co_u32_e64 v32, s[4:5], 0, -1, s[4:5]
	v_cmp_ne_u32_e64 s[4:5], 0, v1
	v_xor_b32_e32 v31, s4, v31
	v_xor_b32_e32 v1, s5, v32
	v_and_b32_e32 v32, exec_lo, v31
	v_lshlrev_b32_e32 v31, 30, v33
	v_cmp_gt_i64_e64 s[4:5], 0, v[30:31]
	v_not_b32_e32 v31, v31
	v_ashrrev_i32_e32 v31, 31, v31
	v_xor_b32_e32 v34, s5, v31
	v_xor_b32_e32 v31, s4, v31
	v_and_b32_e32 v32, v32, v31
	v_lshlrev_b32_e32 v31, 29, v33
	v_cmp_gt_i64_e64 s[4:5], 0, v[30:31]
	v_not_b32_e32 v31, v31
	v_and_b32_e32 v1, exec_hi, v1
	v_ashrrev_i32_e32 v31, 31, v31
	v_and_b32_e32 v1, v1, v34
	v_xor_b32_e32 v34, s5, v31
	v_xor_b32_e32 v31, s4, v31
	v_and_b32_e32 v32, v32, v31
	v_lshlrev_b32_e32 v31, 28, v33
	v_cmp_gt_i64_e64 s[4:5], 0, v[30:31]
	v_not_b32_e32 v31, v31
	v_ashrrev_i32_e32 v31, 31, v31
	v_and_b32_e32 v1, v1, v34
	v_xor_b32_e32 v34, s5, v31
	v_xor_b32_e32 v31, s4, v31
	v_and_b32_e32 v32, v32, v31
	v_lshlrev_b32_e32 v31, 27, v33
	v_cmp_gt_i64_e64 s[4:5], 0, v[30:31]
	v_not_b32_e32 v30, v31
	v_ashrrev_i32_e32 v30, 31, v30
	v_xor_b32_e32 v31, s5, v30
	v_xor_b32_e32 v30, s4, v30
	v_and_b32_e32 v1, v1, v34
	v_and_b32_e32 v30, v32, v30
	;; [unrolled: 1-line block ×3, first 2 shown]
	v_mbcnt_lo_u32_b32 v31, v30, 0
	v_mbcnt_hi_u32_b32 v31, v1, v31
	v_cmp_eq_u32_e64 s[4:5], 0, v31
	s_and_saveexec_b64 s[8:9], s[4:5]
	s_cbranch_execz .LBB27_12
; %bb.11:
	v_bcnt_u32_b32 v30, v30, 0
	v_lshlrev_b32_e32 v31, 2, v33
	v_bcnt_u32_b32 v1, v1, v30
	ds_add_u32 v31, v1
.LBB27_12:
	s_or_b64 exec, exec, s[8:9]
	v_and_b32_e32 v1, 1, v26
	v_add_co_u32_e64 v31, s[4:5], -1, v1
	v_addc_co_u32_e64 v32, s[4:5], 0, -1, s[4:5]
	v_cmp_ne_u32_e64 s[4:5], 0, v1
	v_xor_b32_e32 v31, s4, v31
	v_mov_b32_e32 v30, 0
	v_xor_b32_e32 v1, s5, v32
	v_and_b32_e32 v32, exec_lo, v31
	v_lshlrev_b32_e32 v31, 30, v26
	v_cmp_gt_i64_e64 s[4:5], 0, v[30:31]
	v_not_b32_e32 v31, v31
	v_ashrrev_i32_e32 v31, 31, v31
	v_xor_b32_e32 v33, s5, v31
	v_xor_b32_e32 v31, s4, v31
	v_and_b32_e32 v32, v32, v31
	v_lshlrev_b32_e32 v31, 29, v26
	v_cmp_gt_i64_e64 s[4:5], 0, v[30:31]
	v_not_b32_e32 v31, v31
	v_and_b32_e32 v1, exec_hi, v1
	v_ashrrev_i32_e32 v31, 31, v31
	v_and_b32_e32 v1, v1, v33
	v_xor_b32_e32 v33, s5, v31
	v_xor_b32_e32 v31, s4, v31
	v_and_b32_e32 v32, v32, v31
	v_lshlrev_b32_e32 v31, 28, v26
	v_cmp_gt_i64_e64 s[4:5], 0, v[30:31]
	v_not_b32_e32 v31, v31
	v_ashrrev_i32_e32 v31, 31, v31
	v_and_b32_e32 v1, v1, v33
	v_xor_b32_e32 v33, s5, v31
	v_xor_b32_e32 v31, s4, v31
	v_and_b32_e32 v32, v32, v31
	v_lshlrev_b32_e32 v31, 27, v26
	v_cmp_gt_i64_e64 s[4:5], 0, v[30:31]
	v_not_b32_e32 v31, v31
	v_ashrrev_i32_e32 v31, 31, v31
	v_and_b32_e32 v1, v1, v33
	v_xor_b32_e32 v33, s5, v31
	v_xor_b32_e32 v31, s4, v31
	v_and_b32_e32 v32, v32, v31
	v_and_b32_e32 v1, v1, v33
	v_mbcnt_lo_u32_b32 v31, v32, 0
	v_mbcnt_hi_u32_b32 v31, v1, v31
	v_cmp_eq_u32_e64 s[4:5], 0, v31
	s_and_saveexec_b64 s[8:9], s[4:5]
	s_cbranch_execz .LBB27_14
; %bb.13:
	v_bcnt_u32_b32 v31, v32, 0
	v_lshlrev_b32_e32 v26, 2, v26
	v_bcnt_u32_b32 v1, v1, v31
	ds_add_u32 v26, v1
.LBB27_14:
	s_or_b64 exec, exec, s[8:9]
	v_and_b32_e32 v1, 1, v27
	v_add_co_u32_e64 v26, s[4:5], -1, v1
	v_addc_co_u32_e64 v31, s[4:5], 0, -1, s[4:5]
	v_cmp_ne_u32_e64 s[4:5], 0, v1
	v_xor_b32_e32 v1, s5, v31
	v_lshlrev_b32_e32 v31, 30, v27
	v_xor_b32_e32 v26, s4, v26
	v_cmp_gt_i64_e64 s[4:5], 0, v[30:31]
	v_not_b32_e32 v31, v31
	v_ashrrev_i32_e32 v31, 31, v31
	v_and_b32_e32 v26, exec_lo, v26
	v_xor_b32_e32 v32, s5, v31
	v_xor_b32_e32 v31, s4, v31
	v_and_b32_e32 v26, v26, v31
	v_lshlrev_b32_e32 v31, 29, v27
	v_cmp_gt_i64_e64 s[4:5], 0, v[30:31]
	v_not_b32_e32 v31, v31
	v_and_b32_e32 v1, exec_hi, v1
	v_ashrrev_i32_e32 v31, 31, v31
	v_and_b32_e32 v1, v1, v32
	v_xor_b32_e32 v32, s5, v31
	v_xor_b32_e32 v31, s4, v31
	v_and_b32_e32 v26, v26, v31
	v_lshlrev_b32_e32 v31, 28, v27
	v_cmp_gt_i64_e64 s[4:5], 0, v[30:31]
	v_not_b32_e32 v31, v31
	v_ashrrev_i32_e32 v31, 31, v31
	v_and_b32_e32 v1, v1, v32
	v_xor_b32_e32 v32, s5, v31
	v_xor_b32_e32 v31, s4, v31
	v_and_b32_e32 v26, v26, v31
	v_lshlrev_b32_e32 v31, 27, v27
	v_cmp_gt_i64_e64 s[4:5], 0, v[30:31]
	v_not_b32_e32 v30, v31
	v_ashrrev_i32_e32 v30, 31, v30
	v_xor_b32_e32 v31, s5, v30
	v_xor_b32_e32 v30, s4, v30
	v_and_b32_e32 v1, v1, v32
	v_and_b32_e32 v26, v26, v30
	;; [unrolled: 1-line block ×3, first 2 shown]
	v_mbcnt_lo_u32_b32 v30, v26, 0
	v_mbcnt_hi_u32_b32 v30, v1, v30
	v_cmp_eq_u32_e64 s[4:5], 0, v30
	s_and_saveexec_b64 s[8:9], s[4:5]
	s_cbranch_execz .LBB27_16
; %bb.15:
	v_bcnt_u32_b32 v26, v26, 0
	v_lshlrev_b32_e32 v27, 2, v27
	v_bcnt_u32_b32 v1, v1, v26
	ds_add_u32 v27, v1
.LBB27_16:
	s_or_b64 exec, exec, s[8:9]
	v_and_b32_e32 v1, 1, v28
	v_add_co_u32_e64 v27, s[4:5], -1, v1
	v_addc_co_u32_e64 v30, s[4:5], 0, -1, s[4:5]
	v_cmp_ne_u32_e64 s[4:5], 0, v1
	v_xor_b32_e32 v27, s4, v27
	v_mov_b32_e32 v26, 0
	v_xor_b32_e32 v1, s5, v30
	v_and_b32_e32 v30, exec_lo, v27
	v_lshlrev_b32_e32 v27, 30, v28
	v_cmp_gt_i64_e64 s[4:5], 0, v[26:27]
	v_not_b32_e32 v27, v27
	v_ashrrev_i32_e32 v27, 31, v27
	v_xor_b32_e32 v31, s5, v27
	v_xor_b32_e32 v27, s4, v27
	v_and_b32_e32 v30, v30, v27
	v_lshlrev_b32_e32 v27, 29, v28
	v_cmp_gt_i64_e64 s[4:5], 0, v[26:27]
	v_not_b32_e32 v27, v27
	v_and_b32_e32 v1, exec_hi, v1
	v_ashrrev_i32_e32 v27, 31, v27
	v_and_b32_e32 v1, v1, v31
	v_xor_b32_e32 v31, s5, v27
	v_xor_b32_e32 v27, s4, v27
	v_and_b32_e32 v30, v30, v27
	v_lshlrev_b32_e32 v27, 28, v28
	v_cmp_gt_i64_e64 s[4:5], 0, v[26:27]
	v_not_b32_e32 v27, v27
	v_ashrrev_i32_e32 v27, 31, v27
	v_and_b32_e32 v1, v1, v31
	v_xor_b32_e32 v31, s5, v27
	v_xor_b32_e32 v27, s4, v27
	v_and_b32_e32 v30, v30, v27
	v_lshlrev_b32_e32 v27, 27, v28
	v_cmp_gt_i64_e64 s[4:5], 0, v[26:27]
	v_not_b32_e32 v27, v27
	v_ashrrev_i32_e32 v27, 31, v27
	v_and_b32_e32 v1, v1, v31
	v_xor_b32_e32 v31, s5, v27
	v_xor_b32_e32 v27, s4, v27
	v_and_b32_e32 v30, v30, v27
	v_and_b32_e32 v1, v1, v31
	v_mbcnt_lo_u32_b32 v27, v30, 0
	v_mbcnt_hi_u32_b32 v27, v1, v27
	v_cmp_eq_u32_e64 s[4:5], 0, v27
	s_and_saveexec_b64 s[8:9], s[4:5]
	s_cbranch_execz .LBB27_18
; %bb.17:
	v_lshlrev_b32_e32 v27, 2, v28
	v_bcnt_u32_b32 v28, v30, 0
	v_bcnt_u32_b32 v1, v1, v28
	ds_add_u32 v27, v1
.LBB27_18:
	s_or_b64 exec, exec, s[8:9]
	v_and_b32_e32 v1, 1, v29
	v_add_co_u32_e64 v27, s[4:5], -1, v1
	v_addc_co_u32_e64 v28, s[4:5], 0, -1, s[4:5]
	v_cmp_ne_u32_e64 s[4:5], 0, v1
	v_xor_b32_e32 v27, s4, v27
	v_xor_b32_e32 v1, s5, v28
	v_and_b32_e32 v28, exec_lo, v27
	v_lshlrev_b32_e32 v27, 30, v29
	v_cmp_gt_i64_e64 s[4:5], 0, v[26:27]
	v_not_b32_e32 v27, v27
	v_ashrrev_i32_e32 v27, 31, v27
	v_xor_b32_e32 v30, s5, v27
	v_xor_b32_e32 v27, s4, v27
	v_and_b32_e32 v28, v28, v27
	v_lshlrev_b32_e32 v27, 29, v29
	v_cmp_gt_i64_e64 s[4:5], 0, v[26:27]
	v_not_b32_e32 v27, v27
	v_and_b32_e32 v1, exec_hi, v1
	v_ashrrev_i32_e32 v27, 31, v27
	v_and_b32_e32 v1, v1, v30
	v_xor_b32_e32 v30, s5, v27
	v_xor_b32_e32 v27, s4, v27
	v_and_b32_e32 v28, v28, v27
	v_lshlrev_b32_e32 v27, 28, v29
	v_cmp_gt_i64_e64 s[4:5], 0, v[26:27]
	v_not_b32_e32 v27, v27
	v_ashrrev_i32_e32 v27, 31, v27
	v_and_b32_e32 v1, v1, v30
	v_xor_b32_e32 v30, s5, v27
	v_xor_b32_e32 v27, s4, v27
	v_and_b32_e32 v28, v28, v27
	v_lshlrev_b32_e32 v27, 27, v29
	v_cmp_gt_i64_e64 s[4:5], 0, v[26:27]
	v_not_b32_e32 v26, v27
	v_ashrrev_i32_e32 v26, 31, v26
	v_xor_b32_e32 v27, s5, v26
	v_xor_b32_e32 v26, s4, v26
	v_and_b32_e32 v1, v1, v30
	v_and_b32_e32 v26, v28, v26
	;; [unrolled: 1-line block ×3, first 2 shown]
	v_mbcnt_lo_u32_b32 v27, v26, 0
	v_mbcnt_hi_u32_b32 v27, v1, v27
	v_cmp_eq_u32_e64 s[4:5], 0, v27
	s_and_saveexec_b64 s[8:9], s[4:5]
	s_cbranch_execz .LBB27_20
; %bb.19:
	v_bcnt_u32_b32 v26, v26, 0
	v_lshlrev_b32_e32 v27, 2, v29
	v_bcnt_u32_b32 v1, v1, v26
	ds_add_u32 v27, v1
.LBB27_20:
	s_or_b64 exec, exec, s[8:9]
	v_and_b32_e32 v1, 1, v22
	v_add_co_u32_e64 v27, s[4:5], -1, v1
	v_addc_co_u32_e64 v28, s[4:5], 0, -1, s[4:5]
	v_cmp_ne_u32_e64 s[4:5], 0, v1
	v_xor_b32_e32 v27, s4, v27
	v_mov_b32_e32 v26, 0
	v_xor_b32_e32 v1, s5, v28
	v_and_b32_e32 v28, exec_lo, v27
	v_lshlrev_b32_e32 v27, 30, v22
	v_cmp_gt_i64_e64 s[4:5], 0, v[26:27]
	v_not_b32_e32 v27, v27
	v_ashrrev_i32_e32 v27, 31, v27
	v_xor_b32_e32 v29, s5, v27
	v_xor_b32_e32 v27, s4, v27
	v_and_b32_e32 v28, v28, v27
	v_lshlrev_b32_e32 v27, 29, v22
	v_cmp_gt_i64_e64 s[4:5], 0, v[26:27]
	v_not_b32_e32 v27, v27
	v_and_b32_e32 v1, exec_hi, v1
	v_ashrrev_i32_e32 v27, 31, v27
	v_and_b32_e32 v1, v1, v29
	v_xor_b32_e32 v29, s5, v27
	v_xor_b32_e32 v27, s4, v27
	v_and_b32_e32 v28, v28, v27
	v_lshlrev_b32_e32 v27, 28, v22
	v_cmp_gt_i64_e64 s[4:5], 0, v[26:27]
	v_not_b32_e32 v27, v27
	v_ashrrev_i32_e32 v27, 31, v27
	v_and_b32_e32 v1, v1, v29
	v_xor_b32_e32 v29, s5, v27
	v_xor_b32_e32 v27, s4, v27
	v_and_b32_e32 v28, v28, v27
	v_lshlrev_b32_e32 v27, 27, v22
	v_cmp_gt_i64_e64 s[4:5], 0, v[26:27]
	v_not_b32_e32 v27, v27
	v_ashrrev_i32_e32 v27, 31, v27
	v_and_b32_e32 v1, v1, v29
	v_xor_b32_e32 v29, s5, v27
	v_xor_b32_e32 v27, s4, v27
	v_and_b32_e32 v28, v28, v27
	v_and_b32_e32 v1, v1, v29
	v_mbcnt_lo_u32_b32 v27, v28, 0
	v_mbcnt_hi_u32_b32 v27, v1, v27
	v_cmp_eq_u32_e64 s[4:5], 0, v27
	s_and_saveexec_b64 s[8:9], s[4:5]
	s_cbranch_execz .LBB27_22
; %bb.21:
	v_bcnt_u32_b32 v27, v28, 0
	v_lshlrev_b32_e32 v22, 2, v22
	v_bcnt_u32_b32 v1, v1, v27
	ds_add_u32 v22, v1
.LBB27_22:
	s_or_b64 exec, exec, s[8:9]
	v_and_b32_e32 v1, 1, v23
	v_add_co_u32_e64 v22, s[4:5], -1, v1
	v_addc_co_u32_e64 v27, s[4:5], 0, -1, s[4:5]
	v_cmp_ne_u32_e64 s[4:5], 0, v1
	v_xor_b32_e32 v1, s5, v27
	v_lshlrev_b32_e32 v27, 30, v23
	v_xor_b32_e32 v22, s4, v22
	v_cmp_gt_i64_e64 s[4:5], 0, v[26:27]
	v_not_b32_e32 v27, v27
	v_ashrrev_i32_e32 v27, 31, v27
	v_and_b32_e32 v22, exec_lo, v22
	v_xor_b32_e32 v28, s5, v27
	v_xor_b32_e32 v27, s4, v27
	v_and_b32_e32 v22, v22, v27
	v_lshlrev_b32_e32 v27, 29, v23
	v_cmp_gt_i64_e64 s[4:5], 0, v[26:27]
	v_not_b32_e32 v27, v27
	v_and_b32_e32 v1, exec_hi, v1
	v_ashrrev_i32_e32 v27, 31, v27
	v_and_b32_e32 v1, v1, v28
	v_xor_b32_e32 v28, s5, v27
	v_xor_b32_e32 v27, s4, v27
	v_and_b32_e32 v22, v22, v27
	v_lshlrev_b32_e32 v27, 28, v23
	v_cmp_gt_i64_e64 s[4:5], 0, v[26:27]
	v_not_b32_e32 v27, v27
	v_ashrrev_i32_e32 v27, 31, v27
	v_and_b32_e32 v1, v1, v28
	v_xor_b32_e32 v28, s5, v27
	v_xor_b32_e32 v27, s4, v27
	v_and_b32_e32 v22, v22, v27
	v_lshlrev_b32_e32 v27, 27, v23
	v_cmp_gt_i64_e64 s[4:5], 0, v[26:27]
	v_not_b32_e32 v26, v27
	v_ashrrev_i32_e32 v26, 31, v26
	v_xor_b32_e32 v27, s5, v26
	v_xor_b32_e32 v26, s4, v26
	v_and_b32_e32 v1, v1, v28
	v_and_b32_e32 v22, v22, v26
	;; [unrolled: 1-line block ×3, first 2 shown]
	v_mbcnt_lo_u32_b32 v26, v22, 0
	v_mbcnt_hi_u32_b32 v26, v1, v26
	v_cmp_eq_u32_e64 s[4:5], 0, v26
	s_and_saveexec_b64 s[8:9], s[4:5]
	s_cbranch_execz .LBB27_24
; %bb.23:
	v_bcnt_u32_b32 v22, v22, 0
	v_lshlrev_b32_e32 v23, 2, v23
	v_bcnt_u32_b32 v1, v1, v22
	ds_add_u32 v23, v1
.LBB27_24:
	s_or_b64 exec, exec, s[8:9]
	v_and_b32_e32 v1, 1, v24
	v_add_co_u32_e64 v23, s[4:5], -1, v1
	v_addc_co_u32_e64 v26, s[4:5], 0, -1, s[4:5]
	v_cmp_ne_u32_e64 s[4:5], 0, v1
	v_xor_b32_e32 v23, s4, v23
	v_mov_b32_e32 v22, 0
	v_xor_b32_e32 v1, s5, v26
	v_and_b32_e32 v26, exec_lo, v23
	v_lshlrev_b32_e32 v23, 30, v24
	v_cmp_gt_i64_e64 s[4:5], 0, v[22:23]
	v_not_b32_e32 v23, v23
	v_ashrrev_i32_e32 v23, 31, v23
	v_xor_b32_e32 v27, s5, v23
	v_xor_b32_e32 v23, s4, v23
	v_and_b32_e32 v26, v26, v23
	v_lshlrev_b32_e32 v23, 29, v24
	v_cmp_gt_i64_e64 s[4:5], 0, v[22:23]
	v_not_b32_e32 v23, v23
	v_and_b32_e32 v1, exec_hi, v1
	v_ashrrev_i32_e32 v23, 31, v23
	v_and_b32_e32 v1, v1, v27
	v_xor_b32_e32 v27, s5, v23
	v_xor_b32_e32 v23, s4, v23
	v_and_b32_e32 v26, v26, v23
	v_lshlrev_b32_e32 v23, 28, v24
	v_cmp_gt_i64_e64 s[4:5], 0, v[22:23]
	v_not_b32_e32 v23, v23
	v_ashrrev_i32_e32 v23, 31, v23
	v_and_b32_e32 v1, v1, v27
	v_xor_b32_e32 v27, s5, v23
	v_xor_b32_e32 v23, s4, v23
	v_and_b32_e32 v26, v26, v23
	v_lshlrev_b32_e32 v23, 27, v24
	v_cmp_gt_i64_e64 s[4:5], 0, v[22:23]
	v_not_b32_e32 v23, v23
	v_ashrrev_i32_e32 v23, 31, v23
	v_and_b32_e32 v1, v1, v27
	v_xor_b32_e32 v27, s5, v23
	v_xor_b32_e32 v23, s4, v23
	v_and_b32_e32 v26, v26, v23
	v_and_b32_e32 v1, v1, v27
	v_mbcnt_lo_u32_b32 v23, v26, 0
	v_mbcnt_hi_u32_b32 v23, v1, v23
	v_cmp_eq_u32_e64 s[4:5], 0, v23
	s_and_saveexec_b64 s[8:9], s[4:5]
	s_cbranch_execz .LBB27_26
; %bb.25:
	v_lshlrev_b32_e32 v23, 2, v24
	v_bcnt_u32_b32 v24, v26, 0
	v_bcnt_u32_b32 v1, v1, v24
	ds_add_u32 v23, v1
.LBB27_26:
	s_or_b64 exec, exec, s[8:9]
	v_and_b32_e32 v1, 1, v25
	v_add_co_u32_e64 v23, s[4:5], -1, v1
	v_addc_co_u32_e64 v24, s[4:5], 0, -1, s[4:5]
	v_cmp_ne_u32_e64 s[4:5], 0, v1
	v_xor_b32_e32 v23, s4, v23
	v_xor_b32_e32 v1, s5, v24
	v_and_b32_e32 v24, exec_lo, v23
	v_lshlrev_b32_e32 v23, 30, v25
	v_cmp_gt_i64_e64 s[4:5], 0, v[22:23]
	v_not_b32_e32 v23, v23
	v_ashrrev_i32_e32 v23, 31, v23
	v_xor_b32_e32 v26, s5, v23
	v_xor_b32_e32 v23, s4, v23
	v_and_b32_e32 v24, v24, v23
	v_lshlrev_b32_e32 v23, 29, v25
	v_cmp_gt_i64_e64 s[4:5], 0, v[22:23]
	v_not_b32_e32 v23, v23
	v_and_b32_e32 v1, exec_hi, v1
	v_ashrrev_i32_e32 v23, 31, v23
	v_and_b32_e32 v1, v1, v26
	v_xor_b32_e32 v26, s5, v23
	v_xor_b32_e32 v23, s4, v23
	v_and_b32_e32 v24, v24, v23
	v_lshlrev_b32_e32 v23, 28, v25
	v_cmp_gt_i64_e64 s[4:5], 0, v[22:23]
	v_not_b32_e32 v23, v23
	v_ashrrev_i32_e32 v23, 31, v23
	v_and_b32_e32 v1, v1, v26
	v_xor_b32_e32 v26, s5, v23
	v_xor_b32_e32 v23, s4, v23
	v_and_b32_e32 v24, v24, v23
	v_lshlrev_b32_e32 v23, 27, v25
	v_cmp_gt_i64_e64 s[4:5], 0, v[22:23]
	v_not_b32_e32 v22, v23
	v_ashrrev_i32_e32 v22, 31, v22
	v_xor_b32_e32 v23, s5, v22
	v_xor_b32_e32 v22, s4, v22
	v_and_b32_e32 v1, v1, v26
	v_and_b32_e32 v22, v24, v22
	;; [unrolled: 1-line block ×3, first 2 shown]
	v_mbcnt_lo_u32_b32 v23, v22, 0
	v_mbcnt_hi_u32_b32 v23, v1, v23
	v_cmp_eq_u32_e64 s[4:5], 0, v23
	s_and_saveexec_b64 s[8:9], s[4:5]
	s_cbranch_execz .LBB27_28
; %bb.27:
	v_bcnt_u32_b32 v22, v22, 0
	v_lshlrev_b32_e32 v23, 2, v25
	v_bcnt_u32_b32 v1, v1, v22
	ds_add_u32 v23, v1
.LBB27_28:
	s_or_b64 exec, exec, s[8:9]
	v_and_b32_e32 v1, 1, v18
	v_add_co_u32_e64 v23, s[4:5], -1, v1
	v_addc_co_u32_e64 v24, s[4:5], 0, -1, s[4:5]
	v_cmp_ne_u32_e64 s[4:5], 0, v1
	v_xor_b32_e32 v23, s4, v23
	v_mov_b32_e32 v22, 0
	v_xor_b32_e32 v1, s5, v24
	v_and_b32_e32 v24, exec_lo, v23
	v_lshlrev_b32_e32 v23, 30, v18
	v_cmp_gt_i64_e64 s[4:5], 0, v[22:23]
	v_not_b32_e32 v23, v23
	v_ashrrev_i32_e32 v23, 31, v23
	v_xor_b32_e32 v25, s5, v23
	v_xor_b32_e32 v23, s4, v23
	v_and_b32_e32 v24, v24, v23
	v_lshlrev_b32_e32 v23, 29, v18
	v_cmp_gt_i64_e64 s[4:5], 0, v[22:23]
	v_not_b32_e32 v23, v23
	v_and_b32_e32 v1, exec_hi, v1
	v_ashrrev_i32_e32 v23, 31, v23
	v_and_b32_e32 v1, v1, v25
	v_xor_b32_e32 v25, s5, v23
	v_xor_b32_e32 v23, s4, v23
	v_and_b32_e32 v24, v24, v23
	v_lshlrev_b32_e32 v23, 28, v18
	v_cmp_gt_i64_e64 s[4:5], 0, v[22:23]
	v_not_b32_e32 v23, v23
	v_ashrrev_i32_e32 v23, 31, v23
	v_and_b32_e32 v1, v1, v25
	v_xor_b32_e32 v25, s5, v23
	v_xor_b32_e32 v23, s4, v23
	v_and_b32_e32 v24, v24, v23
	v_lshlrev_b32_e32 v23, 27, v18
	v_cmp_gt_i64_e64 s[4:5], 0, v[22:23]
	v_not_b32_e32 v23, v23
	v_ashrrev_i32_e32 v23, 31, v23
	v_and_b32_e32 v1, v1, v25
	v_xor_b32_e32 v25, s5, v23
	v_xor_b32_e32 v23, s4, v23
	v_and_b32_e32 v24, v24, v23
	v_and_b32_e32 v1, v1, v25
	v_mbcnt_lo_u32_b32 v23, v24, 0
	v_mbcnt_hi_u32_b32 v23, v1, v23
	v_cmp_eq_u32_e64 s[4:5], 0, v23
	s_and_saveexec_b64 s[8:9], s[4:5]
	s_cbranch_execz .LBB27_30
; %bb.29:
	v_bcnt_u32_b32 v23, v24, 0
	v_lshlrev_b32_e32 v18, 2, v18
	v_bcnt_u32_b32 v1, v1, v23
	ds_add_u32 v18, v1
.LBB27_30:
	s_or_b64 exec, exec, s[8:9]
	v_and_b32_e32 v1, 1, v19
	v_add_co_u32_e64 v18, s[4:5], -1, v1
	v_addc_co_u32_e64 v23, s[4:5], 0, -1, s[4:5]
	v_cmp_ne_u32_e64 s[4:5], 0, v1
	v_xor_b32_e32 v1, s5, v23
	v_lshlrev_b32_e32 v23, 30, v19
	v_xor_b32_e32 v18, s4, v18
	v_cmp_gt_i64_e64 s[4:5], 0, v[22:23]
	v_not_b32_e32 v23, v23
	v_ashrrev_i32_e32 v23, 31, v23
	v_and_b32_e32 v18, exec_lo, v18
	v_xor_b32_e32 v24, s5, v23
	v_xor_b32_e32 v23, s4, v23
	v_and_b32_e32 v18, v18, v23
	v_lshlrev_b32_e32 v23, 29, v19
	v_cmp_gt_i64_e64 s[4:5], 0, v[22:23]
	v_not_b32_e32 v23, v23
	v_and_b32_e32 v1, exec_hi, v1
	v_ashrrev_i32_e32 v23, 31, v23
	v_and_b32_e32 v1, v1, v24
	v_xor_b32_e32 v24, s5, v23
	v_xor_b32_e32 v23, s4, v23
	v_and_b32_e32 v18, v18, v23
	v_lshlrev_b32_e32 v23, 28, v19
	v_cmp_gt_i64_e64 s[4:5], 0, v[22:23]
	v_not_b32_e32 v23, v23
	v_ashrrev_i32_e32 v23, 31, v23
	v_and_b32_e32 v1, v1, v24
	v_xor_b32_e32 v24, s5, v23
	v_xor_b32_e32 v23, s4, v23
	v_and_b32_e32 v18, v18, v23
	v_lshlrev_b32_e32 v23, 27, v19
	v_cmp_gt_i64_e64 s[4:5], 0, v[22:23]
	v_not_b32_e32 v22, v23
	v_ashrrev_i32_e32 v22, 31, v22
	v_xor_b32_e32 v23, s5, v22
	v_xor_b32_e32 v22, s4, v22
	v_and_b32_e32 v1, v1, v24
	v_and_b32_e32 v18, v18, v22
	;; [unrolled: 1-line block ×3, first 2 shown]
	v_mbcnt_lo_u32_b32 v22, v18, 0
	v_mbcnt_hi_u32_b32 v22, v1, v22
	v_cmp_eq_u32_e64 s[4:5], 0, v22
	s_and_saveexec_b64 s[8:9], s[4:5]
	s_cbranch_execz .LBB27_32
; %bb.31:
	v_bcnt_u32_b32 v18, v18, 0
	v_lshlrev_b32_e32 v19, 2, v19
	v_bcnt_u32_b32 v1, v1, v18
	ds_add_u32 v19, v1
.LBB27_32:
	s_or_b64 exec, exec, s[8:9]
	v_and_b32_e32 v1, 1, v20
	v_add_co_u32_e64 v19, s[4:5], -1, v1
	v_addc_co_u32_e64 v22, s[4:5], 0, -1, s[4:5]
	v_cmp_ne_u32_e64 s[4:5], 0, v1
	v_xor_b32_e32 v19, s4, v19
	v_mov_b32_e32 v18, 0
	v_xor_b32_e32 v1, s5, v22
	v_and_b32_e32 v22, exec_lo, v19
	v_lshlrev_b32_e32 v19, 30, v20
	v_cmp_gt_i64_e64 s[4:5], 0, v[18:19]
	v_not_b32_e32 v19, v19
	v_ashrrev_i32_e32 v19, 31, v19
	v_xor_b32_e32 v23, s5, v19
	v_xor_b32_e32 v19, s4, v19
	v_and_b32_e32 v22, v22, v19
	v_lshlrev_b32_e32 v19, 29, v20
	v_cmp_gt_i64_e64 s[4:5], 0, v[18:19]
	v_not_b32_e32 v19, v19
	v_and_b32_e32 v1, exec_hi, v1
	v_ashrrev_i32_e32 v19, 31, v19
	v_and_b32_e32 v1, v1, v23
	v_xor_b32_e32 v23, s5, v19
	v_xor_b32_e32 v19, s4, v19
	v_and_b32_e32 v22, v22, v19
	v_lshlrev_b32_e32 v19, 28, v20
	v_cmp_gt_i64_e64 s[4:5], 0, v[18:19]
	v_not_b32_e32 v19, v19
	v_ashrrev_i32_e32 v19, 31, v19
	v_and_b32_e32 v1, v1, v23
	v_xor_b32_e32 v23, s5, v19
	v_xor_b32_e32 v19, s4, v19
	v_and_b32_e32 v22, v22, v19
	v_lshlrev_b32_e32 v19, 27, v20
	v_cmp_gt_i64_e64 s[4:5], 0, v[18:19]
	v_not_b32_e32 v19, v19
	v_ashrrev_i32_e32 v19, 31, v19
	v_and_b32_e32 v1, v1, v23
	v_xor_b32_e32 v23, s5, v19
	v_xor_b32_e32 v19, s4, v19
	v_and_b32_e32 v22, v22, v19
	v_and_b32_e32 v1, v1, v23
	v_mbcnt_lo_u32_b32 v19, v22, 0
	v_mbcnt_hi_u32_b32 v19, v1, v19
	v_cmp_eq_u32_e64 s[4:5], 0, v19
	s_and_saveexec_b64 s[8:9], s[4:5]
	s_cbranch_execz .LBB27_34
; %bb.33:
	v_lshlrev_b32_e32 v19, 2, v20
	v_bcnt_u32_b32 v20, v22, 0
	v_bcnt_u32_b32 v1, v1, v20
	ds_add_u32 v19, v1
.LBB27_34:
	s_or_b64 exec, exec, s[8:9]
	v_and_b32_e32 v1, 1, v21
	v_add_co_u32_e64 v19, s[4:5], -1, v1
	v_addc_co_u32_e64 v20, s[4:5], 0, -1, s[4:5]
	v_cmp_ne_u32_e64 s[4:5], 0, v1
	v_xor_b32_e32 v19, s4, v19
	v_xor_b32_e32 v1, s5, v20
	v_and_b32_e32 v20, exec_lo, v19
	v_lshlrev_b32_e32 v19, 30, v21
	v_cmp_gt_i64_e64 s[4:5], 0, v[18:19]
	v_not_b32_e32 v19, v19
	v_ashrrev_i32_e32 v19, 31, v19
	v_xor_b32_e32 v22, s5, v19
	v_xor_b32_e32 v19, s4, v19
	v_and_b32_e32 v20, v20, v19
	v_lshlrev_b32_e32 v19, 29, v21
	v_cmp_gt_i64_e64 s[4:5], 0, v[18:19]
	v_not_b32_e32 v19, v19
	v_and_b32_e32 v1, exec_hi, v1
	v_ashrrev_i32_e32 v19, 31, v19
	v_and_b32_e32 v1, v1, v22
	v_xor_b32_e32 v22, s5, v19
	v_xor_b32_e32 v19, s4, v19
	v_and_b32_e32 v20, v20, v19
	v_lshlrev_b32_e32 v19, 28, v21
	v_cmp_gt_i64_e64 s[4:5], 0, v[18:19]
	v_not_b32_e32 v19, v19
	v_ashrrev_i32_e32 v19, 31, v19
	v_and_b32_e32 v1, v1, v22
	v_xor_b32_e32 v22, s5, v19
	v_xor_b32_e32 v19, s4, v19
	v_and_b32_e32 v20, v20, v19
	v_lshlrev_b32_e32 v19, 27, v21
	v_cmp_gt_i64_e64 s[4:5], 0, v[18:19]
	v_not_b32_e32 v18, v19
	v_ashrrev_i32_e32 v18, 31, v18
	v_xor_b32_e32 v19, s5, v18
	v_xor_b32_e32 v18, s4, v18
	v_and_b32_e32 v1, v1, v22
	v_and_b32_e32 v18, v20, v18
	;; [unrolled: 1-line block ×3, first 2 shown]
	v_mbcnt_lo_u32_b32 v19, v18, 0
	v_mbcnt_hi_u32_b32 v19, v1, v19
	v_cmp_eq_u32_e64 s[4:5], 0, v19
	s_and_saveexec_b64 s[8:9], s[4:5]
	s_cbranch_execz .LBB27_36
; %bb.35:
	v_bcnt_u32_b32 v18, v18, 0
	v_lshlrev_b32_e32 v19, 2, v21
	v_bcnt_u32_b32 v1, v1, v18
	ds_add_u32 v19, v1
.LBB27_36:
	s_or_b64 exec, exec, s[8:9]
	s_waitcnt vmcnt(0)
	v_and_b32_e32 v1, 1, v14
	v_add_co_u32_e64 v19, s[4:5], -1, v1
	v_addc_co_u32_e64 v20, s[4:5], 0, -1, s[4:5]
	v_cmp_ne_u32_e64 s[4:5], 0, v1
	v_xor_b32_e32 v19, s4, v19
	v_mov_b32_e32 v18, 0
	v_xor_b32_e32 v1, s5, v20
	v_and_b32_e32 v20, exec_lo, v19
	v_lshlrev_b32_e32 v19, 30, v14
	v_cmp_gt_i64_e64 s[4:5], 0, v[18:19]
	v_not_b32_e32 v19, v19
	v_ashrrev_i32_e32 v19, 31, v19
	v_xor_b32_e32 v21, s5, v19
	v_xor_b32_e32 v19, s4, v19
	v_and_b32_e32 v20, v20, v19
	v_lshlrev_b32_e32 v19, 29, v14
	v_cmp_gt_i64_e64 s[4:5], 0, v[18:19]
	v_not_b32_e32 v19, v19
	v_and_b32_e32 v1, exec_hi, v1
	v_ashrrev_i32_e32 v19, 31, v19
	v_and_b32_e32 v1, v1, v21
	v_xor_b32_e32 v21, s5, v19
	v_xor_b32_e32 v19, s4, v19
	v_and_b32_e32 v20, v20, v19
	v_lshlrev_b32_e32 v19, 28, v14
	v_cmp_gt_i64_e64 s[4:5], 0, v[18:19]
	v_not_b32_e32 v19, v19
	v_ashrrev_i32_e32 v19, 31, v19
	v_and_b32_e32 v1, v1, v21
	v_xor_b32_e32 v21, s5, v19
	v_xor_b32_e32 v19, s4, v19
	v_and_b32_e32 v20, v20, v19
	v_lshlrev_b32_e32 v19, 27, v14
	v_cmp_gt_i64_e64 s[4:5], 0, v[18:19]
	v_not_b32_e32 v19, v19
	v_ashrrev_i32_e32 v19, 31, v19
	v_and_b32_e32 v1, v1, v21
	v_xor_b32_e32 v21, s5, v19
	v_xor_b32_e32 v19, s4, v19
	v_and_b32_e32 v20, v20, v19
	v_and_b32_e32 v1, v1, v21
	v_mbcnt_lo_u32_b32 v19, v20, 0
	v_mbcnt_hi_u32_b32 v19, v1, v19
	v_cmp_eq_u32_e64 s[4:5], 0, v19
	s_and_saveexec_b64 s[8:9], s[4:5]
	s_cbranch_execz .LBB27_38
; %bb.37:
	v_bcnt_u32_b32 v19, v20, 0
	v_lshlrev_b32_e32 v14, 2, v14
	v_bcnt_u32_b32 v1, v1, v19
	ds_add_u32 v14, v1
.LBB27_38:
	s_or_b64 exec, exec, s[8:9]
	v_and_b32_e32 v1, 1, v15
	v_add_co_u32_e64 v14, s[4:5], -1, v1
	v_addc_co_u32_e64 v19, s[4:5], 0, -1, s[4:5]
	v_cmp_ne_u32_e64 s[4:5], 0, v1
	v_xor_b32_e32 v1, s5, v19
	v_lshlrev_b32_e32 v19, 30, v15
	v_xor_b32_e32 v14, s4, v14
	v_cmp_gt_i64_e64 s[4:5], 0, v[18:19]
	v_not_b32_e32 v19, v19
	v_ashrrev_i32_e32 v19, 31, v19
	v_and_b32_e32 v14, exec_lo, v14
	v_xor_b32_e32 v20, s5, v19
	v_xor_b32_e32 v19, s4, v19
	v_and_b32_e32 v14, v14, v19
	v_lshlrev_b32_e32 v19, 29, v15
	v_cmp_gt_i64_e64 s[4:5], 0, v[18:19]
	v_not_b32_e32 v19, v19
	v_and_b32_e32 v1, exec_hi, v1
	v_ashrrev_i32_e32 v19, 31, v19
	v_and_b32_e32 v1, v1, v20
	v_xor_b32_e32 v20, s5, v19
	v_xor_b32_e32 v19, s4, v19
	v_and_b32_e32 v14, v14, v19
	v_lshlrev_b32_e32 v19, 28, v15
	v_cmp_gt_i64_e64 s[4:5], 0, v[18:19]
	v_not_b32_e32 v19, v19
	v_ashrrev_i32_e32 v19, 31, v19
	v_and_b32_e32 v1, v1, v20
	v_xor_b32_e32 v20, s5, v19
	v_xor_b32_e32 v19, s4, v19
	v_and_b32_e32 v14, v14, v19
	v_lshlrev_b32_e32 v19, 27, v15
	v_cmp_gt_i64_e64 s[4:5], 0, v[18:19]
	v_not_b32_e32 v18, v19
	v_ashrrev_i32_e32 v18, 31, v18
	v_xor_b32_e32 v19, s5, v18
	v_xor_b32_e32 v18, s4, v18
	v_and_b32_e32 v1, v1, v20
	v_and_b32_e32 v14, v14, v18
	;; [unrolled: 1-line block ×3, first 2 shown]
	v_mbcnt_lo_u32_b32 v18, v14, 0
	v_mbcnt_hi_u32_b32 v18, v1, v18
	v_cmp_eq_u32_e64 s[4:5], 0, v18
	s_and_saveexec_b64 s[8:9], s[4:5]
	s_cbranch_execz .LBB27_40
; %bb.39:
	v_bcnt_u32_b32 v14, v14, 0
	v_lshlrev_b32_e32 v15, 2, v15
	v_bcnt_u32_b32 v1, v1, v14
	ds_add_u32 v15, v1
.LBB27_40:
	s_or_b64 exec, exec, s[8:9]
	v_and_b32_e32 v1, 1, v16
	v_add_co_u32_e64 v15, s[4:5], -1, v1
	v_addc_co_u32_e64 v18, s[4:5], 0, -1, s[4:5]
	v_cmp_ne_u32_e64 s[4:5], 0, v1
	v_xor_b32_e32 v15, s4, v15
	v_mov_b32_e32 v14, 0
	v_xor_b32_e32 v1, s5, v18
	v_and_b32_e32 v18, exec_lo, v15
	v_lshlrev_b32_e32 v15, 30, v16
	v_cmp_gt_i64_e64 s[4:5], 0, v[14:15]
	v_not_b32_e32 v15, v15
	v_ashrrev_i32_e32 v15, 31, v15
	v_xor_b32_e32 v19, s5, v15
	v_xor_b32_e32 v15, s4, v15
	v_and_b32_e32 v18, v18, v15
	v_lshlrev_b32_e32 v15, 29, v16
	v_cmp_gt_i64_e64 s[4:5], 0, v[14:15]
	v_not_b32_e32 v15, v15
	v_and_b32_e32 v1, exec_hi, v1
	v_ashrrev_i32_e32 v15, 31, v15
	v_and_b32_e32 v1, v1, v19
	v_xor_b32_e32 v19, s5, v15
	v_xor_b32_e32 v15, s4, v15
	v_and_b32_e32 v18, v18, v15
	v_lshlrev_b32_e32 v15, 28, v16
	v_cmp_gt_i64_e64 s[4:5], 0, v[14:15]
	v_not_b32_e32 v15, v15
	v_ashrrev_i32_e32 v15, 31, v15
	v_and_b32_e32 v1, v1, v19
	v_xor_b32_e32 v19, s5, v15
	v_xor_b32_e32 v15, s4, v15
	v_and_b32_e32 v18, v18, v15
	v_lshlrev_b32_e32 v15, 27, v16
	v_cmp_gt_i64_e64 s[4:5], 0, v[14:15]
	v_not_b32_e32 v15, v15
	v_ashrrev_i32_e32 v15, 31, v15
	v_and_b32_e32 v1, v1, v19
	v_xor_b32_e32 v19, s5, v15
	v_xor_b32_e32 v15, s4, v15
	v_and_b32_e32 v18, v18, v15
	v_and_b32_e32 v1, v1, v19
	v_mbcnt_lo_u32_b32 v15, v18, 0
	v_mbcnt_hi_u32_b32 v15, v1, v15
	v_cmp_eq_u32_e64 s[4:5], 0, v15
	s_and_saveexec_b64 s[8:9], s[4:5]
	s_cbranch_execz .LBB27_42
; %bb.41:
	v_lshlrev_b32_e32 v15, 2, v16
	v_bcnt_u32_b32 v16, v18, 0
	v_bcnt_u32_b32 v1, v1, v16
	ds_add_u32 v15, v1
.LBB27_42:
	s_or_b64 exec, exec, s[8:9]
	v_and_b32_e32 v1, 1, v17
	v_add_co_u32_e64 v15, s[4:5], -1, v1
	v_addc_co_u32_e64 v16, s[4:5], 0, -1, s[4:5]
	v_cmp_ne_u32_e64 s[4:5], 0, v1
	v_xor_b32_e32 v15, s4, v15
	v_xor_b32_e32 v1, s5, v16
	v_and_b32_e32 v16, exec_lo, v15
	v_lshlrev_b32_e32 v15, 30, v17
	v_cmp_gt_i64_e64 s[4:5], 0, v[14:15]
	v_not_b32_e32 v15, v15
	v_ashrrev_i32_e32 v15, 31, v15
	v_xor_b32_e32 v18, s5, v15
	v_xor_b32_e32 v15, s4, v15
	v_and_b32_e32 v16, v16, v15
	v_lshlrev_b32_e32 v15, 29, v17
	v_cmp_gt_i64_e64 s[4:5], 0, v[14:15]
	v_not_b32_e32 v15, v15
	v_and_b32_e32 v1, exec_hi, v1
	v_ashrrev_i32_e32 v15, 31, v15
	v_and_b32_e32 v1, v1, v18
	v_xor_b32_e32 v18, s5, v15
	v_xor_b32_e32 v15, s4, v15
	v_and_b32_e32 v16, v16, v15
	v_lshlrev_b32_e32 v15, 28, v17
	v_cmp_gt_i64_e64 s[4:5], 0, v[14:15]
	v_not_b32_e32 v15, v15
	v_ashrrev_i32_e32 v15, 31, v15
	v_and_b32_e32 v1, v1, v18
	v_xor_b32_e32 v18, s5, v15
	v_xor_b32_e32 v15, s4, v15
	v_and_b32_e32 v16, v16, v15
	v_lshlrev_b32_e32 v15, 27, v17
	v_cmp_gt_i64_e64 s[4:5], 0, v[14:15]
	v_not_b32_e32 v14, v15
	v_ashrrev_i32_e32 v14, 31, v14
	v_xor_b32_e32 v15, s5, v14
	v_xor_b32_e32 v14, s4, v14
	v_and_b32_e32 v1, v1, v18
	v_and_b32_e32 v14, v16, v14
	;; [unrolled: 1-line block ×3, first 2 shown]
	v_mbcnt_lo_u32_b32 v15, v14, 0
	v_mbcnt_hi_u32_b32 v15, v1, v15
	v_cmp_eq_u32_e64 s[4:5], 0, v15
	s_and_saveexec_b64 s[8:9], s[4:5]
	s_cbranch_execz .LBB27_44
; %bb.43:
	v_bcnt_u32_b32 v14, v14, 0
	v_lshlrev_b32_e32 v15, 2, v17
	v_bcnt_u32_b32 v1, v1, v14
	ds_add_u32 v15, v1
.LBB27_44:
	s_or_b64 exec, exec, s[8:9]
	v_and_b32_e32 v1, 1, v10
	v_add_co_u32_e64 v15, s[4:5], -1, v1
	v_addc_co_u32_e64 v16, s[4:5], 0, -1, s[4:5]
	v_cmp_ne_u32_e64 s[4:5], 0, v1
	v_xor_b32_e32 v15, s4, v15
	v_mov_b32_e32 v14, 0
	v_xor_b32_e32 v1, s5, v16
	v_and_b32_e32 v16, exec_lo, v15
	v_lshlrev_b32_e32 v15, 30, v10
	v_cmp_gt_i64_e64 s[4:5], 0, v[14:15]
	v_not_b32_e32 v15, v15
	v_ashrrev_i32_e32 v15, 31, v15
	v_xor_b32_e32 v17, s5, v15
	v_xor_b32_e32 v15, s4, v15
	v_and_b32_e32 v16, v16, v15
	v_lshlrev_b32_e32 v15, 29, v10
	v_cmp_gt_i64_e64 s[4:5], 0, v[14:15]
	v_not_b32_e32 v15, v15
	v_and_b32_e32 v1, exec_hi, v1
	v_ashrrev_i32_e32 v15, 31, v15
	v_and_b32_e32 v1, v1, v17
	v_xor_b32_e32 v17, s5, v15
	v_xor_b32_e32 v15, s4, v15
	v_and_b32_e32 v16, v16, v15
	v_lshlrev_b32_e32 v15, 28, v10
	v_cmp_gt_i64_e64 s[4:5], 0, v[14:15]
	v_not_b32_e32 v15, v15
	v_ashrrev_i32_e32 v15, 31, v15
	v_and_b32_e32 v1, v1, v17
	v_xor_b32_e32 v17, s5, v15
	v_xor_b32_e32 v15, s4, v15
	v_and_b32_e32 v16, v16, v15
	v_lshlrev_b32_e32 v15, 27, v10
	v_cmp_gt_i64_e64 s[4:5], 0, v[14:15]
	v_not_b32_e32 v15, v15
	v_ashrrev_i32_e32 v15, 31, v15
	v_and_b32_e32 v1, v1, v17
	v_xor_b32_e32 v17, s5, v15
	v_xor_b32_e32 v15, s4, v15
	v_and_b32_e32 v16, v16, v15
	v_and_b32_e32 v1, v1, v17
	v_mbcnt_lo_u32_b32 v15, v16, 0
	v_mbcnt_hi_u32_b32 v15, v1, v15
	v_cmp_eq_u32_e64 s[4:5], 0, v15
	s_and_saveexec_b64 s[8:9], s[4:5]
	s_cbranch_execz .LBB27_46
; %bb.45:
	v_bcnt_u32_b32 v15, v16, 0
	v_lshlrev_b32_e32 v10, 2, v10
	v_bcnt_u32_b32 v1, v1, v15
	ds_add_u32 v10, v1
.LBB27_46:
	s_or_b64 exec, exec, s[8:9]
	v_and_b32_e32 v1, 1, v11
	v_add_co_u32_e64 v10, s[4:5], -1, v1
	v_addc_co_u32_e64 v15, s[4:5], 0, -1, s[4:5]
	v_cmp_ne_u32_e64 s[4:5], 0, v1
	v_xor_b32_e32 v1, s5, v15
	v_lshlrev_b32_e32 v15, 30, v11
	v_xor_b32_e32 v10, s4, v10
	v_cmp_gt_i64_e64 s[4:5], 0, v[14:15]
	v_not_b32_e32 v15, v15
	v_ashrrev_i32_e32 v15, 31, v15
	v_and_b32_e32 v10, exec_lo, v10
	v_xor_b32_e32 v16, s5, v15
	v_xor_b32_e32 v15, s4, v15
	v_and_b32_e32 v10, v10, v15
	v_lshlrev_b32_e32 v15, 29, v11
	v_cmp_gt_i64_e64 s[4:5], 0, v[14:15]
	v_not_b32_e32 v15, v15
	v_and_b32_e32 v1, exec_hi, v1
	v_ashrrev_i32_e32 v15, 31, v15
	v_and_b32_e32 v1, v1, v16
	v_xor_b32_e32 v16, s5, v15
	v_xor_b32_e32 v15, s4, v15
	v_and_b32_e32 v10, v10, v15
	v_lshlrev_b32_e32 v15, 28, v11
	v_cmp_gt_i64_e64 s[4:5], 0, v[14:15]
	v_not_b32_e32 v15, v15
	v_ashrrev_i32_e32 v15, 31, v15
	v_and_b32_e32 v1, v1, v16
	v_xor_b32_e32 v16, s5, v15
	v_xor_b32_e32 v15, s4, v15
	v_and_b32_e32 v10, v10, v15
	v_lshlrev_b32_e32 v15, 27, v11
	v_cmp_gt_i64_e64 s[4:5], 0, v[14:15]
	v_not_b32_e32 v14, v15
	v_ashrrev_i32_e32 v14, 31, v14
	v_xor_b32_e32 v15, s5, v14
	v_xor_b32_e32 v14, s4, v14
	v_and_b32_e32 v1, v1, v16
	v_and_b32_e32 v10, v10, v14
	;; [unrolled: 1-line block ×3, first 2 shown]
	v_mbcnt_lo_u32_b32 v14, v10, 0
	v_mbcnt_hi_u32_b32 v14, v1, v14
	v_cmp_eq_u32_e64 s[4:5], 0, v14
	s_and_saveexec_b64 s[8:9], s[4:5]
	s_cbranch_execz .LBB27_48
; %bb.47:
	v_bcnt_u32_b32 v10, v10, 0
	v_lshlrev_b32_e32 v11, 2, v11
	v_bcnt_u32_b32 v1, v1, v10
	ds_add_u32 v11, v1
.LBB27_48:
	s_or_b64 exec, exec, s[8:9]
	v_and_b32_e32 v1, 1, v12
	v_add_co_u32_e64 v11, s[4:5], -1, v1
	v_addc_co_u32_e64 v14, s[4:5], 0, -1, s[4:5]
	v_cmp_ne_u32_e64 s[4:5], 0, v1
	v_xor_b32_e32 v11, s4, v11
	v_mov_b32_e32 v10, 0
	v_xor_b32_e32 v1, s5, v14
	v_and_b32_e32 v14, exec_lo, v11
	v_lshlrev_b32_e32 v11, 30, v12
	v_cmp_gt_i64_e64 s[4:5], 0, v[10:11]
	v_not_b32_e32 v11, v11
	v_ashrrev_i32_e32 v11, 31, v11
	v_xor_b32_e32 v15, s5, v11
	v_xor_b32_e32 v11, s4, v11
	v_and_b32_e32 v14, v14, v11
	v_lshlrev_b32_e32 v11, 29, v12
	v_cmp_gt_i64_e64 s[4:5], 0, v[10:11]
	v_not_b32_e32 v11, v11
	v_and_b32_e32 v1, exec_hi, v1
	v_ashrrev_i32_e32 v11, 31, v11
	v_and_b32_e32 v1, v1, v15
	v_xor_b32_e32 v15, s5, v11
	v_xor_b32_e32 v11, s4, v11
	v_and_b32_e32 v14, v14, v11
	v_lshlrev_b32_e32 v11, 28, v12
	v_cmp_gt_i64_e64 s[4:5], 0, v[10:11]
	v_not_b32_e32 v11, v11
	v_ashrrev_i32_e32 v11, 31, v11
	v_and_b32_e32 v1, v1, v15
	v_xor_b32_e32 v15, s5, v11
	v_xor_b32_e32 v11, s4, v11
	v_and_b32_e32 v14, v14, v11
	v_lshlrev_b32_e32 v11, 27, v12
	v_cmp_gt_i64_e64 s[4:5], 0, v[10:11]
	v_not_b32_e32 v11, v11
	v_ashrrev_i32_e32 v11, 31, v11
	v_and_b32_e32 v1, v1, v15
	v_xor_b32_e32 v15, s5, v11
	v_xor_b32_e32 v11, s4, v11
	v_and_b32_e32 v14, v14, v11
	v_and_b32_e32 v1, v1, v15
	v_mbcnt_lo_u32_b32 v11, v14, 0
	v_mbcnt_hi_u32_b32 v11, v1, v11
	v_cmp_eq_u32_e64 s[4:5], 0, v11
	s_and_saveexec_b64 s[8:9], s[4:5]
	s_cbranch_execz .LBB27_50
; %bb.49:
	v_lshlrev_b32_e32 v11, 2, v12
	v_bcnt_u32_b32 v12, v14, 0
	v_bcnt_u32_b32 v1, v1, v12
	ds_add_u32 v11, v1
.LBB27_50:
	s_or_b64 exec, exec, s[8:9]
	v_and_b32_e32 v1, 1, v13
	v_add_co_u32_e64 v11, s[4:5], -1, v1
	v_addc_co_u32_e64 v12, s[4:5], 0, -1, s[4:5]
	v_cmp_ne_u32_e64 s[4:5], 0, v1
	v_xor_b32_e32 v11, s4, v11
	v_xor_b32_e32 v1, s5, v12
	v_and_b32_e32 v12, exec_lo, v11
	v_lshlrev_b32_e32 v11, 30, v13
	v_cmp_gt_i64_e64 s[4:5], 0, v[10:11]
	v_not_b32_e32 v11, v11
	v_ashrrev_i32_e32 v11, 31, v11
	v_xor_b32_e32 v14, s5, v11
	v_xor_b32_e32 v11, s4, v11
	v_and_b32_e32 v12, v12, v11
	v_lshlrev_b32_e32 v11, 29, v13
	v_cmp_gt_i64_e64 s[4:5], 0, v[10:11]
	v_not_b32_e32 v11, v11
	v_and_b32_e32 v1, exec_hi, v1
	v_ashrrev_i32_e32 v11, 31, v11
	v_and_b32_e32 v1, v1, v14
	v_xor_b32_e32 v14, s5, v11
	v_xor_b32_e32 v11, s4, v11
	v_and_b32_e32 v12, v12, v11
	v_lshlrev_b32_e32 v11, 28, v13
	v_cmp_gt_i64_e64 s[4:5], 0, v[10:11]
	v_not_b32_e32 v11, v11
	v_ashrrev_i32_e32 v11, 31, v11
	v_and_b32_e32 v1, v1, v14
	v_xor_b32_e32 v14, s5, v11
	v_xor_b32_e32 v11, s4, v11
	v_and_b32_e32 v12, v12, v11
	v_lshlrev_b32_e32 v11, 27, v13
	v_cmp_gt_i64_e64 s[4:5], 0, v[10:11]
	v_not_b32_e32 v10, v11
	v_ashrrev_i32_e32 v10, 31, v10
	v_xor_b32_e32 v11, s5, v10
	v_xor_b32_e32 v10, s4, v10
	v_and_b32_e32 v1, v1, v14
	v_and_b32_e32 v10, v12, v10
	;; [unrolled: 1-line block ×3, first 2 shown]
	v_mbcnt_lo_u32_b32 v11, v10, 0
	v_mbcnt_hi_u32_b32 v11, v1, v11
	v_cmp_eq_u32_e64 s[4:5], 0, v11
	s_and_saveexec_b64 s[8:9], s[4:5]
	s_cbranch_execz .LBB27_52
; %bb.51:
	v_bcnt_u32_b32 v10, v10, 0
	v_lshlrev_b32_e32 v11, 2, v13
	v_bcnt_u32_b32 v1, v1, v10
	ds_add_u32 v11, v1
.LBB27_52:
	s_or_b64 exec, exec, s[8:9]
	v_and_b32_e32 v1, 1, v6
	v_add_co_u32_e64 v11, s[4:5], -1, v1
	v_addc_co_u32_e64 v12, s[4:5], 0, -1, s[4:5]
	v_cmp_ne_u32_e64 s[4:5], 0, v1
	v_xor_b32_e32 v11, s4, v11
	v_mov_b32_e32 v10, 0
	v_xor_b32_e32 v1, s5, v12
	v_and_b32_e32 v12, exec_lo, v11
	v_lshlrev_b32_e32 v11, 30, v6
	v_cmp_gt_i64_e64 s[4:5], 0, v[10:11]
	v_not_b32_e32 v11, v11
	v_ashrrev_i32_e32 v11, 31, v11
	v_xor_b32_e32 v13, s5, v11
	v_xor_b32_e32 v11, s4, v11
	v_and_b32_e32 v12, v12, v11
	v_lshlrev_b32_e32 v11, 29, v6
	v_cmp_gt_i64_e64 s[4:5], 0, v[10:11]
	v_not_b32_e32 v11, v11
	v_and_b32_e32 v1, exec_hi, v1
	v_ashrrev_i32_e32 v11, 31, v11
	v_and_b32_e32 v1, v1, v13
	v_xor_b32_e32 v13, s5, v11
	v_xor_b32_e32 v11, s4, v11
	v_and_b32_e32 v12, v12, v11
	v_lshlrev_b32_e32 v11, 28, v6
	v_cmp_gt_i64_e64 s[4:5], 0, v[10:11]
	v_not_b32_e32 v11, v11
	v_ashrrev_i32_e32 v11, 31, v11
	v_and_b32_e32 v1, v1, v13
	v_xor_b32_e32 v13, s5, v11
	v_xor_b32_e32 v11, s4, v11
	v_and_b32_e32 v12, v12, v11
	v_lshlrev_b32_e32 v11, 27, v6
	v_cmp_gt_i64_e64 s[4:5], 0, v[10:11]
	v_not_b32_e32 v11, v11
	v_ashrrev_i32_e32 v11, 31, v11
	v_and_b32_e32 v1, v1, v13
	v_xor_b32_e32 v13, s5, v11
	v_xor_b32_e32 v11, s4, v11
	v_and_b32_e32 v12, v12, v11
	v_and_b32_e32 v1, v1, v13
	v_mbcnt_lo_u32_b32 v11, v12, 0
	v_mbcnt_hi_u32_b32 v11, v1, v11
	v_cmp_eq_u32_e64 s[4:5], 0, v11
	s_and_saveexec_b64 s[8:9], s[4:5]
	s_cbranch_execz .LBB27_54
; %bb.53:
	v_bcnt_u32_b32 v11, v12, 0
	v_lshlrev_b32_e32 v6, 2, v6
	v_bcnt_u32_b32 v1, v1, v11
	ds_add_u32 v6, v1
.LBB27_54:
	s_or_b64 exec, exec, s[8:9]
	v_and_b32_e32 v1, 1, v7
	v_add_co_u32_e64 v6, s[4:5], -1, v1
	v_addc_co_u32_e64 v11, s[4:5], 0, -1, s[4:5]
	v_cmp_ne_u32_e64 s[4:5], 0, v1
	v_xor_b32_e32 v1, s5, v11
	v_lshlrev_b32_e32 v11, 30, v7
	v_xor_b32_e32 v6, s4, v6
	v_cmp_gt_i64_e64 s[4:5], 0, v[10:11]
	v_not_b32_e32 v11, v11
	v_ashrrev_i32_e32 v11, 31, v11
	v_and_b32_e32 v6, exec_lo, v6
	v_xor_b32_e32 v12, s5, v11
	v_xor_b32_e32 v11, s4, v11
	v_and_b32_e32 v6, v6, v11
	v_lshlrev_b32_e32 v11, 29, v7
	v_cmp_gt_i64_e64 s[4:5], 0, v[10:11]
	v_not_b32_e32 v11, v11
	v_and_b32_e32 v1, exec_hi, v1
	v_ashrrev_i32_e32 v11, 31, v11
	v_and_b32_e32 v1, v1, v12
	v_xor_b32_e32 v12, s5, v11
	v_xor_b32_e32 v11, s4, v11
	v_and_b32_e32 v6, v6, v11
	v_lshlrev_b32_e32 v11, 28, v7
	v_cmp_gt_i64_e64 s[4:5], 0, v[10:11]
	v_not_b32_e32 v11, v11
	v_ashrrev_i32_e32 v11, 31, v11
	v_and_b32_e32 v1, v1, v12
	v_xor_b32_e32 v12, s5, v11
	v_xor_b32_e32 v11, s4, v11
	v_and_b32_e32 v6, v6, v11
	v_lshlrev_b32_e32 v11, 27, v7
	v_cmp_gt_i64_e64 s[4:5], 0, v[10:11]
	v_not_b32_e32 v10, v11
	v_ashrrev_i32_e32 v10, 31, v10
	v_xor_b32_e32 v11, s5, v10
	v_xor_b32_e32 v10, s4, v10
	v_and_b32_e32 v1, v1, v12
	v_and_b32_e32 v6, v6, v10
	;; [unrolled: 1-line block ×3, first 2 shown]
	v_mbcnt_lo_u32_b32 v10, v6, 0
	v_mbcnt_hi_u32_b32 v10, v1, v10
	v_cmp_eq_u32_e64 s[4:5], 0, v10
	s_and_saveexec_b64 s[8:9], s[4:5]
	s_cbranch_execz .LBB27_56
; %bb.55:
	v_bcnt_u32_b32 v6, v6, 0
	v_lshlrev_b32_e32 v7, 2, v7
	v_bcnt_u32_b32 v1, v1, v6
	ds_add_u32 v7, v1
.LBB27_56:
	s_or_b64 exec, exec, s[8:9]
	v_and_b32_e32 v1, 1, v8
	v_add_co_u32_e64 v7, s[4:5], -1, v1
	v_addc_co_u32_e64 v10, s[4:5], 0, -1, s[4:5]
	v_cmp_ne_u32_e64 s[4:5], 0, v1
	v_xor_b32_e32 v7, s4, v7
	v_mov_b32_e32 v6, 0
	v_xor_b32_e32 v1, s5, v10
	v_and_b32_e32 v10, exec_lo, v7
	v_lshlrev_b32_e32 v7, 30, v8
	v_cmp_gt_i64_e64 s[4:5], 0, v[6:7]
	v_not_b32_e32 v7, v7
	v_ashrrev_i32_e32 v7, 31, v7
	v_xor_b32_e32 v11, s5, v7
	v_xor_b32_e32 v7, s4, v7
	v_and_b32_e32 v10, v10, v7
	v_lshlrev_b32_e32 v7, 29, v8
	v_cmp_gt_i64_e64 s[4:5], 0, v[6:7]
	v_not_b32_e32 v7, v7
	v_and_b32_e32 v1, exec_hi, v1
	v_ashrrev_i32_e32 v7, 31, v7
	v_and_b32_e32 v1, v1, v11
	v_xor_b32_e32 v11, s5, v7
	v_xor_b32_e32 v7, s4, v7
	v_and_b32_e32 v10, v10, v7
	v_lshlrev_b32_e32 v7, 28, v8
	v_cmp_gt_i64_e64 s[4:5], 0, v[6:7]
	v_not_b32_e32 v7, v7
	v_ashrrev_i32_e32 v7, 31, v7
	v_and_b32_e32 v1, v1, v11
	v_xor_b32_e32 v11, s5, v7
	v_xor_b32_e32 v7, s4, v7
	v_and_b32_e32 v10, v10, v7
	v_lshlrev_b32_e32 v7, 27, v8
	v_cmp_gt_i64_e64 s[4:5], 0, v[6:7]
	v_not_b32_e32 v7, v7
	v_ashrrev_i32_e32 v7, 31, v7
	v_and_b32_e32 v1, v1, v11
	v_xor_b32_e32 v11, s5, v7
	v_xor_b32_e32 v7, s4, v7
	v_and_b32_e32 v10, v10, v7
	v_and_b32_e32 v1, v1, v11
	v_mbcnt_lo_u32_b32 v7, v10, 0
	v_mbcnt_hi_u32_b32 v7, v1, v7
	v_cmp_eq_u32_e64 s[4:5], 0, v7
	s_and_saveexec_b64 s[8:9], s[4:5]
	s_cbranch_execz .LBB27_58
; %bb.57:
	v_lshlrev_b32_e32 v7, 2, v8
	v_bcnt_u32_b32 v8, v10, 0
	v_bcnt_u32_b32 v1, v1, v8
	ds_add_u32 v7, v1
.LBB27_58:
	s_or_b64 exec, exec, s[8:9]
	v_and_b32_e32 v1, 1, v9
	v_add_co_u32_e64 v7, s[4:5], -1, v1
	v_addc_co_u32_e64 v8, s[4:5], 0, -1, s[4:5]
	v_cmp_ne_u32_e64 s[4:5], 0, v1
	v_xor_b32_e32 v7, s4, v7
	v_xor_b32_e32 v1, s5, v8
	v_and_b32_e32 v8, exec_lo, v7
	v_lshlrev_b32_e32 v7, 30, v9
	v_cmp_gt_i64_e64 s[4:5], 0, v[6:7]
	v_not_b32_e32 v7, v7
	v_ashrrev_i32_e32 v7, 31, v7
	v_xor_b32_e32 v10, s5, v7
	v_xor_b32_e32 v7, s4, v7
	v_and_b32_e32 v8, v8, v7
	v_lshlrev_b32_e32 v7, 29, v9
	v_cmp_gt_i64_e64 s[4:5], 0, v[6:7]
	v_not_b32_e32 v7, v7
	v_and_b32_e32 v1, exec_hi, v1
	v_ashrrev_i32_e32 v7, 31, v7
	v_and_b32_e32 v1, v1, v10
	v_xor_b32_e32 v10, s5, v7
	v_xor_b32_e32 v7, s4, v7
	v_and_b32_e32 v8, v8, v7
	v_lshlrev_b32_e32 v7, 28, v9
	v_cmp_gt_i64_e64 s[4:5], 0, v[6:7]
	v_not_b32_e32 v7, v7
	v_ashrrev_i32_e32 v7, 31, v7
	v_and_b32_e32 v1, v1, v10
	v_xor_b32_e32 v10, s5, v7
	v_xor_b32_e32 v7, s4, v7
	v_and_b32_e32 v8, v8, v7
	v_lshlrev_b32_e32 v7, 27, v9
	v_cmp_gt_i64_e64 s[4:5], 0, v[6:7]
	v_not_b32_e32 v6, v7
	v_ashrrev_i32_e32 v6, 31, v6
	v_xor_b32_e32 v7, s5, v6
	v_xor_b32_e32 v6, s4, v6
	v_and_b32_e32 v1, v1, v10
	v_and_b32_e32 v6, v8, v6
	;; [unrolled: 1-line block ×3, first 2 shown]
	v_mbcnt_lo_u32_b32 v7, v6, 0
	v_mbcnt_hi_u32_b32 v7, v1, v7
	v_cmp_eq_u32_e64 s[4:5], 0, v7
	s_and_saveexec_b64 s[8:9], s[4:5]
	s_cbranch_execz .LBB27_60
; %bb.59:
	v_bcnt_u32_b32 v6, v6, 0
	v_lshlrev_b32_e32 v7, 2, v9
	v_bcnt_u32_b32 v1, v1, v6
	ds_add_u32 v7, v1
.LBB27_60:
	s_or_b64 exec, exec, s[8:9]
	v_and_b32_e32 v1, 1, v2
	v_add_co_u32_e64 v7, s[4:5], -1, v1
	v_addc_co_u32_e64 v8, s[4:5], 0, -1, s[4:5]
	v_cmp_ne_u32_e64 s[4:5], 0, v1
	v_xor_b32_e32 v7, s4, v7
	v_mov_b32_e32 v6, 0
	v_xor_b32_e32 v1, s5, v8
	v_and_b32_e32 v8, exec_lo, v7
	v_lshlrev_b32_e32 v7, 30, v2
	v_cmp_gt_i64_e64 s[4:5], 0, v[6:7]
	v_not_b32_e32 v7, v7
	v_ashrrev_i32_e32 v7, 31, v7
	v_xor_b32_e32 v9, s5, v7
	v_xor_b32_e32 v7, s4, v7
	v_and_b32_e32 v8, v8, v7
	v_lshlrev_b32_e32 v7, 29, v2
	v_cmp_gt_i64_e64 s[4:5], 0, v[6:7]
	v_not_b32_e32 v7, v7
	v_and_b32_e32 v1, exec_hi, v1
	v_ashrrev_i32_e32 v7, 31, v7
	v_and_b32_e32 v1, v1, v9
	v_xor_b32_e32 v9, s5, v7
	v_xor_b32_e32 v7, s4, v7
	v_and_b32_e32 v8, v8, v7
	v_lshlrev_b32_e32 v7, 28, v2
	v_cmp_gt_i64_e64 s[4:5], 0, v[6:7]
	v_not_b32_e32 v7, v7
	v_ashrrev_i32_e32 v7, 31, v7
	v_and_b32_e32 v1, v1, v9
	v_xor_b32_e32 v9, s5, v7
	v_xor_b32_e32 v7, s4, v7
	v_and_b32_e32 v8, v8, v7
	v_lshlrev_b32_e32 v7, 27, v2
	v_cmp_gt_i64_e64 s[4:5], 0, v[6:7]
	v_not_b32_e32 v7, v7
	v_ashrrev_i32_e32 v7, 31, v7
	v_and_b32_e32 v1, v1, v9
	v_xor_b32_e32 v9, s5, v7
	v_xor_b32_e32 v7, s4, v7
	v_and_b32_e32 v8, v8, v7
	v_and_b32_e32 v1, v1, v9
	v_mbcnt_lo_u32_b32 v7, v8, 0
	v_mbcnt_hi_u32_b32 v7, v1, v7
	v_cmp_eq_u32_e64 s[4:5], 0, v7
	s_and_saveexec_b64 s[8:9], s[4:5]
	s_cbranch_execz .LBB27_62
; %bb.61:
	v_bcnt_u32_b32 v7, v8, 0
	v_lshlrev_b32_e32 v2, 2, v2
	v_bcnt_u32_b32 v1, v1, v7
	ds_add_u32 v2, v1
.LBB27_62:
	s_or_b64 exec, exec, s[8:9]
	v_and_b32_e32 v1, 1, v3
	v_add_co_u32_e64 v2, s[4:5], -1, v1
	v_addc_co_u32_e64 v7, s[4:5], 0, -1, s[4:5]
	v_cmp_ne_u32_e64 s[4:5], 0, v1
	v_xor_b32_e32 v1, s5, v7
	v_lshlrev_b32_e32 v7, 30, v3
	v_xor_b32_e32 v2, s4, v2
	v_cmp_gt_i64_e64 s[4:5], 0, v[6:7]
	v_not_b32_e32 v7, v7
	v_ashrrev_i32_e32 v7, 31, v7
	v_and_b32_e32 v2, exec_lo, v2
	v_xor_b32_e32 v8, s5, v7
	v_xor_b32_e32 v7, s4, v7
	v_and_b32_e32 v2, v2, v7
	v_lshlrev_b32_e32 v7, 29, v3
	v_cmp_gt_i64_e64 s[4:5], 0, v[6:7]
	v_not_b32_e32 v7, v7
	v_and_b32_e32 v1, exec_hi, v1
	v_ashrrev_i32_e32 v7, 31, v7
	v_and_b32_e32 v1, v1, v8
	v_xor_b32_e32 v8, s5, v7
	v_xor_b32_e32 v7, s4, v7
	v_and_b32_e32 v2, v2, v7
	v_lshlrev_b32_e32 v7, 28, v3
	v_cmp_gt_i64_e64 s[4:5], 0, v[6:7]
	v_not_b32_e32 v7, v7
	v_ashrrev_i32_e32 v7, 31, v7
	v_and_b32_e32 v1, v1, v8
	v_xor_b32_e32 v8, s5, v7
	v_xor_b32_e32 v7, s4, v7
	v_and_b32_e32 v2, v2, v7
	v_lshlrev_b32_e32 v7, 27, v3
	v_cmp_gt_i64_e64 s[4:5], 0, v[6:7]
	v_not_b32_e32 v6, v7
	v_ashrrev_i32_e32 v6, 31, v6
	v_xor_b32_e32 v7, s5, v6
	v_xor_b32_e32 v6, s4, v6
	v_and_b32_e32 v1, v1, v8
	v_and_b32_e32 v2, v2, v6
	;; [unrolled: 1-line block ×3, first 2 shown]
	v_mbcnt_lo_u32_b32 v6, v2, 0
	v_mbcnt_hi_u32_b32 v6, v1, v6
	v_cmp_eq_u32_e64 s[4:5], 0, v6
	s_and_saveexec_b64 s[8:9], s[4:5]
	s_cbranch_execz .LBB27_64
; %bb.63:
	v_bcnt_u32_b32 v2, v2, 0
	v_lshlrev_b32_e32 v3, 2, v3
	v_bcnt_u32_b32 v1, v1, v2
	ds_add_u32 v3, v1
.LBB27_64:
	s_or_b64 exec, exec, s[8:9]
	v_and_b32_e32 v1, 1, v4
	v_add_co_u32_e64 v3, s[4:5], -1, v1
	v_addc_co_u32_e64 v6, s[4:5], 0, -1, s[4:5]
	v_cmp_ne_u32_e64 s[4:5], 0, v1
	v_xor_b32_e32 v3, s4, v3
	v_mov_b32_e32 v2, 0
	v_xor_b32_e32 v1, s5, v6
	v_and_b32_e32 v6, exec_lo, v3
	v_lshlrev_b32_e32 v3, 30, v4
	v_cmp_gt_i64_e64 s[4:5], 0, v[2:3]
	v_not_b32_e32 v3, v3
	v_ashrrev_i32_e32 v3, 31, v3
	v_xor_b32_e32 v7, s5, v3
	v_xor_b32_e32 v3, s4, v3
	v_and_b32_e32 v6, v6, v3
	v_lshlrev_b32_e32 v3, 29, v4
	v_cmp_gt_i64_e64 s[4:5], 0, v[2:3]
	v_not_b32_e32 v3, v3
	v_and_b32_e32 v1, exec_hi, v1
	v_ashrrev_i32_e32 v3, 31, v3
	v_and_b32_e32 v1, v1, v7
	v_xor_b32_e32 v7, s5, v3
	v_xor_b32_e32 v3, s4, v3
	v_and_b32_e32 v6, v6, v3
	v_lshlrev_b32_e32 v3, 28, v4
	v_cmp_gt_i64_e64 s[4:5], 0, v[2:3]
	v_not_b32_e32 v3, v3
	v_ashrrev_i32_e32 v3, 31, v3
	v_and_b32_e32 v1, v1, v7
	v_xor_b32_e32 v7, s5, v3
	v_xor_b32_e32 v3, s4, v3
	v_and_b32_e32 v6, v6, v3
	v_lshlrev_b32_e32 v3, 27, v4
	v_cmp_gt_i64_e64 s[4:5], 0, v[2:3]
	v_not_b32_e32 v3, v3
	v_ashrrev_i32_e32 v3, 31, v3
	v_and_b32_e32 v1, v1, v7
	v_xor_b32_e32 v7, s5, v3
	v_xor_b32_e32 v3, s4, v3
	v_and_b32_e32 v6, v6, v3
	v_and_b32_e32 v1, v1, v7
	v_mbcnt_lo_u32_b32 v3, v6, 0
	v_mbcnt_hi_u32_b32 v3, v1, v3
	v_cmp_eq_u32_e64 s[4:5], 0, v3
	s_and_saveexec_b64 s[8:9], s[4:5]
	s_cbranch_execz .LBB27_66
; %bb.65:
	v_lshlrev_b32_e32 v3, 2, v4
	v_bcnt_u32_b32 v4, v6, 0
	v_bcnt_u32_b32 v1, v1, v4
	ds_add_u32 v3, v1
.LBB27_66:
	s_or_b64 exec, exec, s[8:9]
	v_and_b32_e32 v1, 1, v5
	v_add_co_u32_e64 v3, s[4:5], -1, v1
	v_addc_co_u32_e64 v4, s[4:5], 0, -1, s[4:5]
	v_cmp_ne_u32_e64 s[4:5], 0, v1
	v_xor_b32_e32 v3, s4, v3
	v_xor_b32_e32 v1, s5, v4
	v_and_b32_e32 v4, exec_lo, v3
	v_lshlrev_b32_e32 v3, 30, v5
	v_cmp_gt_i64_e64 s[4:5], 0, v[2:3]
	v_not_b32_e32 v3, v3
	v_ashrrev_i32_e32 v3, 31, v3
	v_xor_b32_e32 v6, s5, v3
	v_xor_b32_e32 v3, s4, v3
	v_and_b32_e32 v4, v4, v3
	v_lshlrev_b32_e32 v3, 29, v5
	v_cmp_gt_i64_e64 s[4:5], 0, v[2:3]
	v_not_b32_e32 v3, v3
	v_and_b32_e32 v1, exec_hi, v1
	v_ashrrev_i32_e32 v3, 31, v3
	v_and_b32_e32 v1, v1, v6
	v_xor_b32_e32 v6, s5, v3
	v_xor_b32_e32 v3, s4, v3
	v_and_b32_e32 v4, v4, v3
	v_lshlrev_b32_e32 v3, 28, v5
	v_cmp_gt_i64_e64 s[4:5], 0, v[2:3]
	v_not_b32_e32 v3, v3
	v_ashrrev_i32_e32 v3, 31, v3
	v_and_b32_e32 v1, v1, v6
	v_xor_b32_e32 v6, s5, v3
	v_xor_b32_e32 v3, s4, v3
	v_and_b32_e32 v4, v4, v3
	v_lshlrev_b32_e32 v3, 27, v5
	v_cmp_gt_i64_e64 s[4:5], 0, v[2:3]
	v_not_b32_e32 v2, v3
	v_ashrrev_i32_e32 v2, 31, v2
	v_xor_b32_e32 v3, s5, v2
	v_xor_b32_e32 v2, s4, v2
	v_and_b32_e32 v1, v1, v6
	v_and_b32_e32 v2, v4, v2
	;; [unrolled: 1-line block ×3, first 2 shown]
	v_mbcnt_lo_u32_b32 v3, v2, 0
	v_mbcnt_hi_u32_b32 v3, v1, v3
	v_cmp_eq_u32_e64 s[4:5], 0, v3
	s_and_saveexec_b64 s[8:9], s[4:5]
	s_cbranch_execz .LBB27_68
; %bb.67:
	v_bcnt_u32_b32 v2, v2, 0
	v_lshlrev_b32_e32 v3, 2, v5
	v_bcnt_u32_b32 v1, v1, v2
	ds_add_u32 v3, v1
.LBB27_68:
	s_or_b64 exec, exec, s[8:9]
	s_mul_i32 s6, s6, 18
	v_mov_b32_e32 v1, s6
	s_waitcnt lgkmcnt(0)
	; wave barrier
	s_waitcnt lgkmcnt(0)
	s_waitcnt lgkmcnt(0)
	; wave barrier
	s_waitcnt lgkmcnt(0)
	s_and_saveexec_b64 s[4:5], s[2:3]
	s_cbranch_execnz .LBB27_74
; %bb.69:
	s_or_b64 exec, exec, s[4:5]
	s_and_saveexec_b64 s[2:3], s[0:1]
	s_cbranch_execnz .LBB27_75
.LBB27_70:
	s_or_b64 exec, exec, s[2:3]
	s_and_saveexec_b64 s[0:1], vcc
	s_cbranch_execnz .LBB27_76
.LBB27_71:
	s_endpgm
.LBB27_72:
	ds_write_b32 v37, v35
	s_or_b64 exec, exec, s[0:1]
	v_cmp_gt_u32_e64 s[0:1], 12, v0
	s_and_saveexec_b64 s[4:5], s[0:1]
	s_cbranch_execz .LBB27_2
.LBB27_73:
	v_mov_b32_e32 v1, 0
	ds_write_b32 v37, v1 offset:24
	s_or_b64 exec, exec, s[4:5]
	v_cmp_gt_u32_e32 vcc, 6, v0
	s_and_saveexec_b64 s[4:5], vcc
	s_cbranch_execnz .LBB27_3
	s_branch .LBB27_4
.LBB27_74:
	ds_read_b32 v4, v37
	v_add_u32_e32 v2, s6, v0
	v_mov_b32_e32 v3, 0
	v_lshlrev_b64 v[2:3], 2, v[2:3]
	s_add_i32 s7, s6, 6
	v_mov_b32_e32 v1, s11
	v_add_co_u32_e64 v2, s[2:3], s10, v2
	v_addc_co_u32_e64 v3, s[2:3], v1, v3, s[2:3]
	v_mov_b32_e32 v1, s7
	s_waitcnt lgkmcnt(0)
	global_store_dword v[2:3], v4, off
	s_or_b64 exec, exec, s[4:5]
	s_and_saveexec_b64 s[2:3], s[0:1]
	s_cbranch_execz .LBB27_70
.LBB27_75:
	ds_read_b32 v5, v37 offset:24
	v_add_u32_e32 v2, v1, v0
	v_mov_b32_e32 v3, 0
	v_lshlrev_b64 v[2:3], 2, v[2:3]
	v_add_u32_e32 v4, 6, v1
	v_mov_b32_e32 v1, s11
	v_add_co_u32_e64 v2, s[0:1], s10, v2
	v_addc_co_u32_e64 v3, s[0:1], v1, v3, s[0:1]
	v_mov_b32_e32 v1, v4
	s_waitcnt lgkmcnt(0)
	global_store_dword v[2:3], v5, off
	s_or_b64 exec, exec, s[2:3]
	s_and_saveexec_b64 s[0:1], vcc
	s_cbranch_execz .LBB27_71
.LBB27_76:
	ds_read_b32 v3, v37 offset:48
	v_add_u32_e32 v0, v1, v0
	v_mov_b32_e32 v1, 0
	v_lshlrev_b64 v[0:1], 2, v[0:1]
	v_mov_b32_e32 v2, s11
	v_add_co_u32_e32 v0, vcc, s10, v0
	v_addc_co_u32_e32 v1, vcc, v2, v1, vcc
	s_waitcnt lgkmcnt(0)
	global_store_dword v[0:1], v3, off
	s_endpgm
	.section	.rodata,"a",@progbits
	.p2align	6, 0x0
	.amdhsa_kernel _Z16histogram_kernelILj6ELj32ELj18ELN6hipcub23BlockHistogramAlgorithmE0EjEvPT3_S3_
		.amdhsa_group_segment_fixed_size 72
		.amdhsa_private_segment_fixed_size 0
		.amdhsa_kernarg_size 16
		.amdhsa_user_sgpr_count 6
		.amdhsa_user_sgpr_private_segment_buffer 1
		.amdhsa_user_sgpr_dispatch_ptr 0
		.amdhsa_user_sgpr_queue_ptr 0
		.amdhsa_user_sgpr_kernarg_segment_ptr 1
		.amdhsa_user_sgpr_dispatch_id 0
		.amdhsa_user_sgpr_flat_scratch_init 0
		.amdhsa_user_sgpr_kernarg_preload_length 0
		.amdhsa_user_sgpr_kernarg_preload_offset 0
		.amdhsa_user_sgpr_private_segment_size 0
		.amdhsa_uses_dynamic_stack 0
		.amdhsa_system_sgpr_private_segment_wavefront_offset 0
		.amdhsa_system_sgpr_workgroup_id_x 1
		.amdhsa_system_sgpr_workgroup_id_y 0
		.amdhsa_system_sgpr_workgroup_id_z 0
		.amdhsa_system_sgpr_workgroup_info 0
		.amdhsa_system_vgpr_workitem_id 0
		.amdhsa_next_free_vgpr 39
		.amdhsa_next_free_sgpr 12
		.amdhsa_accum_offset 40
		.amdhsa_reserve_vcc 1
		.amdhsa_reserve_flat_scratch 0
		.amdhsa_float_round_mode_32 0
		.amdhsa_float_round_mode_16_64 0
		.amdhsa_float_denorm_mode_32 3
		.amdhsa_float_denorm_mode_16_64 3
		.amdhsa_dx10_clamp 1
		.amdhsa_ieee_mode 1
		.amdhsa_fp16_overflow 0
		.amdhsa_tg_split 0
		.amdhsa_exception_fp_ieee_invalid_op 0
		.amdhsa_exception_fp_denorm_src 0
		.amdhsa_exception_fp_ieee_div_zero 0
		.amdhsa_exception_fp_ieee_overflow 0
		.amdhsa_exception_fp_ieee_underflow 0
		.amdhsa_exception_fp_ieee_inexact 0
		.amdhsa_exception_int_div_zero 0
	.end_amdhsa_kernel
	.section	.text._Z16histogram_kernelILj6ELj32ELj18ELN6hipcub23BlockHistogramAlgorithmE0EjEvPT3_S3_,"axG",@progbits,_Z16histogram_kernelILj6ELj32ELj18ELN6hipcub23BlockHistogramAlgorithmE0EjEvPT3_S3_,comdat
.Lfunc_end27:
	.size	_Z16histogram_kernelILj6ELj32ELj18ELN6hipcub23BlockHistogramAlgorithmE0EjEvPT3_S3_, .Lfunc_end27-_Z16histogram_kernelILj6ELj32ELj18ELN6hipcub23BlockHistogramAlgorithmE0EjEvPT3_S3_
                                        ; -- End function
	.section	.AMDGPU.csdata,"",@progbits
; Kernel info:
; codeLenInByte = 8652
; NumSgprs: 16
; NumVgprs: 39
; NumAgprs: 0
; TotalNumVgprs: 39
; ScratchSize: 0
; MemoryBound: 0
; FloatMode: 240
; IeeeMode: 1
; LDSByteSize: 72 bytes/workgroup (compile time only)
; SGPRBlocks: 1
; VGPRBlocks: 4
; NumSGPRsForWavesPerEU: 16
; NumVGPRsForWavesPerEU: 39
; AccumOffset: 40
; Occupancy: 8
; WaveLimiterHint : 0
; COMPUTE_PGM_RSRC2:SCRATCH_EN: 0
; COMPUTE_PGM_RSRC2:USER_SGPR: 6
; COMPUTE_PGM_RSRC2:TRAP_HANDLER: 0
; COMPUTE_PGM_RSRC2:TGID_X_EN: 1
; COMPUTE_PGM_RSRC2:TGID_Y_EN: 0
; COMPUTE_PGM_RSRC2:TGID_Z_EN: 0
; COMPUTE_PGM_RSRC2:TIDIG_COMP_CNT: 0
; COMPUTE_PGM_RSRC3_GFX90A:ACCUM_OFFSET: 9
; COMPUTE_PGM_RSRC3_GFX90A:TG_SPLIT: 0
	.text
	.p2alignl 6, 3212836864
	.fill 256, 4, 3212836864
	.type	__hip_cuid_45494d910a0f8049,@object ; @__hip_cuid_45494d910a0f8049
	.section	.bss,"aw",@nobits
	.globl	__hip_cuid_45494d910a0f8049
__hip_cuid_45494d910a0f8049:
	.byte	0                               ; 0x0
	.size	__hip_cuid_45494d910a0f8049, 1

	.ident	"AMD clang version 19.0.0git (https://github.com/RadeonOpenCompute/llvm-project roc-6.4.0 25133 c7fe45cf4b819c5991fe208aaa96edf142730f1d)"
	.section	".note.GNU-stack","",@progbits
	.addrsig
	.addrsig_sym __hip_cuid_45494d910a0f8049
	.amdgpu_metadata
---
amdhsa.kernels:
  - .agpr_count:     0
    .args:
      - .address_space:  global
        .offset:         0
        .size:           8
        .value_kind:     global_buffer
      - .address_space:  global
        .offset:         8
        .size:           8
        .value_kind:     global_buffer
      - .offset:         16
        .size:           4
        .value_kind:     hidden_block_count_x
      - .offset:         20
        .size:           4
        .value_kind:     hidden_block_count_y
      - .offset:         24
        .size:           4
        .value_kind:     hidden_block_count_z
      - .offset:         28
        .size:           2
        .value_kind:     hidden_group_size_x
      - .offset:         30
        .size:           2
        .value_kind:     hidden_group_size_y
      - .offset:         32
        .size:           2
        .value_kind:     hidden_group_size_z
      - .offset:         34
        .size:           2
        .value_kind:     hidden_remainder_x
      - .offset:         36
        .size:           2
        .value_kind:     hidden_remainder_y
      - .offset:         38
        .size:           2
        .value_kind:     hidden_remainder_z
      - .offset:         56
        .size:           8
        .value_kind:     hidden_global_offset_x
      - .offset:         64
        .size:           8
        .value_kind:     hidden_global_offset_y
      - .offset:         72
        .size:           8
        .value_kind:     hidden_global_offset_z
      - .offset:         80
        .size:           2
        .value_kind:     hidden_grid_dims
    .group_segment_fixed_size: 18496
    .kernarg_segment_align: 8
    .kernarg_segment_size: 272
    .language:       OpenCL C
    .language_version:
      - 2
      - 0
    .max_flat_workgroup_size: 1024
    .name:           _Z16histogram_kernelILj1024ELj1ELj1024ELN6hipcub23BlockHistogramAlgorithmE1EtEvPT3_S3_
    .private_segment_fixed_size: 0
    .sgpr_count:     32
    .sgpr_spill_count: 0
    .symbol:         _Z16histogram_kernelILj1024ELj1ELj1024ELN6hipcub23BlockHistogramAlgorithmE1EtEvPT3_S3_.kd
    .uniform_work_group_size: 1
    .uses_dynamic_stack: false
    .vgpr_count:     26
    .vgpr_spill_count: 0
    .wavefront_size: 64
  - .agpr_count:     0
    .args:
      - .address_space:  global
        .offset:         0
        .size:           8
        .value_kind:     global_buffer
      - .address_space:  global
        .offset:         8
        .size:           8
        .value_kind:     global_buffer
      - .offset:         16
        .size:           4
        .value_kind:     hidden_block_count_x
      - .offset:         20
        .size:           4
        .value_kind:     hidden_block_count_y
      - .offset:         24
        .size:           4
        .value_kind:     hidden_block_count_z
      - .offset:         28
        .size:           2
        .value_kind:     hidden_group_size_x
      - .offset:         30
        .size:           2
        .value_kind:     hidden_group_size_y
      - .offset:         32
        .size:           2
        .value_kind:     hidden_group_size_z
      - .offset:         34
        .size:           2
        .value_kind:     hidden_remainder_x
      - .offset:         36
        .size:           2
        .value_kind:     hidden_remainder_y
      - .offset:         38
        .size:           2
        .value_kind:     hidden_remainder_z
      - .offset:         56
        .size:           8
        .value_kind:     hidden_global_offset_x
      - .offset:         64
        .size:           8
        .value_kind:     hidden_global_offset_y
      - .offset:         72
        .size:           8
        .value_kind:     hidden_global_offset_z
      - .offset:         80
        .size:           2
        .value_kind:     hidden_grid_dims
    .group_segment_fixed_size: 9248
    .kernarg_segment_align: 8
    .kernarg_segment_size: 272
    .language:       OpenCL C
    .language_version:
      - 2
      - 0
    .max_flat_workgroup_size: 512
    .name:           _Z16histogram_kernelILj512ELj4ELj512ELN6hipcub23BlockHistogramAlgorithmE1EtEvPT3_S3_
    .private_segment_fixed_size: 0
    .sgpr_count:     44
    .sgpr_spill_count: 0
    .symbol:         _Z16histogram_kernelILj512ELj4ELj512ELN6hipcub23BlockHistogramAlgorithmE1EtEvPT3_S3_.kd
    .uniform_work_group_size: 1
    .uses_dynamic_stack: false
    .vgpr_count:     33
    .vgpr_spill_count: 0
    .wavefront_size: 64
  - .agpr_count:     0
    .args:
      - .address_space:  global
        .offset:         0
        .size:           8
        .value_kind:     global_buffer
      - .address_space:  global
        .offset:         8
        .size:           8
        .value_kind:     global_buffer
      - .offset:         16
        .size:           4
        .value_kind:     hidden_block_count_x
      - .offset:         20
        .size:           4
        .value_kind:     hidden_block_count_y
      - .offset:         24
        .size:           4
        .value_kind:     hidden_block_count_z
      - .offset:         28
        .size:           2
        .value_kind:     hidden_group_size_x
      - .offset:         30
        .size:           2
        .value_kind:     hidden_group_size_y
      - .offset:         32
        .size:           2
        .value_kind:     hidden_group_size_z
      - .offset:         34
        .size:           2
        .value_kind:     hidden_remainder_x
      - .offset:         36
        .size:           2
        .value_kind:     hidden_remainder_y
      - .offset:         38
        .size:           2
        .value_kind:     hidden_remainder_z
      - .offset:         56
        .size:           8
        .value_kind:     hidden_global_offset_x
      - .offset:         64
        .size:           8
        .value_kind:     hidden_global_offset_y
      - .offset:         72
        .size:           8
        .value_kind:     hidden_global_offset_z
      - .offset:         80
        .size:           2
        .value_kind:     hidden_grid_dims
    .group_segment_fixed_size: 6144
    .kernarg_segment_align: 8
    .kernarg_segment_size: 272
    .language:       OpenCL C
    .language_version:
      - 2
      - 0
    .max_flat_workgroup_size: 256
    .name:           _Z16histogram_kernelILj256ELj3ELj512ELN6hipcub23BlockHistogramAlgorithmE1EtEvPT3_S3_
    .private_segment_fixed_size: 0
    .sgpr_count:     44
    .sgpr_spill_count: 0
    .symbol:         _Z16histogram_kernelILj256ELj3ELj512ELN6hipcub23BlockHistogramAlgorithmE1EtEvPT3_S3_.kd
    .uniform_work_group_size: 1
    .uses_dynamic_stack: false
    .vgpr_count:     28
    .vgpr_spill_count: 0
    .wavefront_size: 64
  - .agpr_count:     0
    .args:
      - .address_space:  global
        .offset:         0
        .size:           8
        .value_kind:     global_buffer
      - .address_space:  global
        .offset:         8
        .size:           8
        .value_kind:     global_buffer
    .group_segment_fixed_size: 1168
    .kernarg_segment_align: 8
    .kernarg_segment_size: 16
    .language:       OpenCL C
    .language_version:
      - 2
      - 0
    .max_flat_workgroup_size: 32
    .name:           _Z16histogram_kernelILj32ELj2ELj64ELN6hipcub23BlockHistogramAlgorithmE1EtEvPT3_S3_
    .private_segment_fixed_size: 0
    .sgpr_count:     42
    .sgpr_spill_count: 0
    .symbol:         _Z16histogram_kernelILj32ELj2ELj64ELN6hipcub23BlockHistogramAlgorithmE1EtEvPT3_S3_.kd
    .uniform_work_group_size: 1
    .uses_dynamic_stack: false
    .vgpr_count:     22
    .vgpr_spill_count: 0
    .wavefront_size: 64
  - .agpr_count:     0
    .args:
      - .address_space:  global
        .offset:         0
        .size:           8
        .value_kind:     global_buffer
      - .address_space:  global
        .offset:         8
        .size:           8
        .value_kind:     global_buffer
    .group_segment_fixed_size: 420
    .kernarg_segment_align: 8
    .kernarg_segment_size: 16
    .language:       OpenCL C
    .language_version:
      - 2
      - 0
    .max_flat_workgroup_size: 6
    .name:           _Z16histogram_kernelILj6ELj32ELj18ELN6hipcub23BlockHistogramAlgorithmE1EtEvPT3_S3_
    .private_segment_fixed_size: 0
    .sgpr_count:     35
    .sgpr_spill_count: 0
    .symbol:         _Z16histogram_kernelILj6ELj32ELj18ELN6hipcub23BlockHistogramAlgorithmE1EtEvPT3_S3_.kd
    .uniform_work_group_size: 1
    .uses_dynamic_stack: false
    .vgpr_count:     131
    .vgpr_spill_count: 0
    .wavefront_size: 64
  - .agpr_count:     0
    .args:
      - .address_space:  global
        .offset:         0
        .size:           8
        .value_kind:     global_buffer
      - .address_space:  global
        .offset:         8
        .size:           8
        .value_kind:     global_buffer
      - .offset:         16
        .size:           4
        .value_kind:     hidden_block_count_x
      - .offset:         20
        .size:           4
        .value_kind:     hidden_block_count_y
      - .offset:         24
        .size:           4
        .value_kind:     hidden_block_count_z
      - .offset:         28
        .size:           2
        .value_kind:     hidden_group_size_x
      - .offset:         30
        .size:           2
        .value_kind:     hidden_group_size_y
      - .offset:         32
        .size:           2
        .value_kind:     hidden_group_size_z
      - .offset:         34
        .size:           2
        .value_kind:     hidden_remainder_x
      - .offset:         36
        .size:           2
        .value_kind:     hidden_remainder_y
      - .offset:         38
        .size:           2
        .value_kind:     hidden_remainder_z
      - .offset:         56
        .size:           8
        .value_kind:     hidden_global_offset_x
      - .offset:         64
        .size:           8
        .value_kind:     hidden_global_offset_y
      - .offset:         72
        .size:           8
        .value_kind:     hidden_global_offset_z
      - .offset:         80
        .size:           2
        .value_kind:     hidden_grid_dims
    .group_segment_fixed_size: 17472
    .kernarg_segment_align: 8
    .kernarg_segment_size: 272
    .language:       OpenCL C
    .language_version:
      - 2
      - 0
    .max_flat_workgroup_size: 1024
    .name:           _Z16histogram_kernelILj1024ELj1ELj1024ELN6hipcub23BlockHistogramAlgorithmE1EhEvPT3_S3_
    .private_segment_fixed_size: 0
    .sgpr_count:     16
    .sgpr_spill_count: 0
    .symbol:         _Z16histogram_kernelILj1024ELj1ELj1024ELN6hipcub23BlockHistogramAlgorithmE1EhEvPT3_S3_.kd
    .uniform_work_group_size: 1
    .uses_dynamic_stack: false
    .vgpr_count:     16
    .vgpr_spill_count: 0
    .wavefront_size: 64
  - .agpr_count:     0
    .args:
      - .address_space:  global
        .offset:         0
        .size:           8
        .value_kind:     global_buffer
      - .address_space:  global
        .offset:         8
        .size:           8
        .value_kind:     global_buffer
      - .offset:         16
        .size:           4
        .value_kind:     hidden_block_count_x
      - .offset:         20
        .size:           4
        .value_kind:     hidden_block_count_y
      - .offset:         24
        .size:           4
        .value_kind:     hidden_block_count_z
      - .offset:         28
        .size:           2
        .value_kind:     hidden_group_size_x
      - .offset:         30
        .size:           2
        .value_kind:     hidden_group_size_y
      - .offset:         32
        .size:           2
        .value_kind:     hidden_group_size_z
      - .offset:         34
        .size:           2
        .value_kind:     hidden_remainder_x
      - .offset:         36
        .size:           2
        .value_kind:     hidden_remainder_y
      - .offset:         38
        .size:           2
        .value_kind:     hidden_remainder_z
      - .offset:         56
        .size:           8
        .value_kind:     hidden_global_offset_x
      - .offset:         64
        .size:           8
        .value_kind:     hidden_global_offset_y
      - .offset:         72
        .size:           8
        .value_kind:     hidden_global_offset_z
      - .offset:         80
        .size:           2
        .value_kind:     hidden_grid_dims
    .group_segment_fixed_size: 8736
    .kernarg_segment_align: 8
    .kernarg_segment_size: 272
    .language:       OpenCL C
    .language_version:
      - 2
      - 0
    .max_flat_workgroup_size: 512
    .name:           _Z16histogram_kernelILj512ELj4ELj512ELN6hipcub23BlockHistogramAlgorithmE1EhEvPT3_S3_
    .private_segment_fixed_size: 0
    .sgpr_count:     20
    .sgpr_spill_count: 0
    .symbol:         _Z16histogram_kernelILj512ELj4ELj512ELN6hipcub23BlockHistogramAlgorithmE1EhEvPT3_S3_.kd
    .uniform_work_group_size: 1
    .uses_dynamic_stack: false
    .vgpr_count:     29
    .vgpr_spill_count: 0
    .wavefront_size: 64
  - .agpr_count:     0
    .args:
      - .address_space:  global
        .offset:         0
        .size:           8
        .value_kind:     global_buffer
      - .address_space:  global
        .offset:         8
        .size:           8
        .value_kind:     global_buffer
      - .offset:         16
        .size:           4
        .value_kind:     hidden_block_count_x
      - .offset:         20
        .size:           4
        .value_kind:     hidden_block_count_y
      - .offset:         24
        .size:           4
        .value_kind:     hidden_block_count_z
      - .offset:         28
        .size:           2
        .value_kind:     hidden_group_size_x
      - .offset:         30
        .size:           2
        .value_kind:     hidden_group_size_y
      - .offset:         32
        .size:           2
        .value_kind:     hidden_group_size_z
      - .offset:         34
        .size:           2
        .value_kind:     hidden_remainder_x
      - .offset:         36
        .size:           2
        .value_kind:     hidden_remainder_y
      - .offset:         38
        .size:           2
        .value_kind:     hidden_remainder_z
      - .offset:         56
        .size:           8
        .value_kind:     hidden_global_offset_x
      - .offset:         64
        .size:           8
        .value_kind:     hidden_global_offset_y
      - .offset:         72
        .size:           8
        .value_kind:     hidden_global_offset_z
      - .offset:         80
        .size:           2
        .value_kind:     hidden_grid_dims
    .group_segment_fixed_size: 5120
    .kernarg_segment_align: 8
    .kernarg_segment_size: 272
    .language:       OpenCL C
    .language_version:
      - 2
      - 0
    .max_flat_workgroup_size: 256
    .name:           _Z16histogram_kernelILj256ELj3ELj512ELN6hipcub23BlockHistogramAlgorithmE1EhEvPT3_S3_
    .private_segment_fixed_size: 0
    .sgpr_count:     20
    .sgpr_spill_count: 0
    .symbol:         _Z16histogram_kernelILj256ELj3ELj512ELN6hipcub23BlockHistogramAlgorithmE1EhEvPT3_S3_.kd
    .uniform_work_group_size: 1
    .uses_dynamic_stack: false
    .vgpr_count:     24
    .vgpr_spill_count: 0
    .wavefront_size: 64
  - .agpr_count:     0
    .args:
      - .address_space:  global
        .offset:         0
        .size:           8
        .value_kind:     global_buffer
      - .address_space:  global
        .offset:         8
        .size:           8
        .value_kind:     global_buffer
    .group_segment_fixed_size: 1104
    .kernarg_segment_align: 8
    .kernarg_segment_size: 16
    .language:       OpenCL C
    .language_version:
      - 2
      - 0
    .max_flat_workgroup_size: 32
    .name:           _Z16histogram_kernelILj32ELj2ELj64ELN6hipcub23BlockHistogramAlgorithmE1EhEvPT3_S3_
    .private_segment_fixed_size: 0
    .sgpr_count:     34
    .sgpr_spill_count: 0
    .symbol:         _Z16histogram_kernelILj32ELj2ELj64ELN6hipcub23BlockHistogramAlgorithmE1EhEvPT3_S3_.kd
    .uniform_work_group_size: 1
    .uses_dynamic_stack: false
    .vgpr_count:     22
    .vgpr_spill_count: 0
    .wavefront_size: 64
  - .agpr_count:     0
    .args:
      - .address_space:  global
        .offset:         0
        .size:           8
        .value_kind:     global_buffer
      - .address_space:  global
        .offset:         8
        .size:           8
        .value_kind:     global_buffer
    .group_segment_fixed_size: 226
    .kernarg_segment_align: 8
    .kernarg_segment_size: 16
    .language:       OpenCL C
    .language_version:
      - 2
      - 0
    .max_flat_workgroup_size: 6
    .name:           _Z16histogram_kernelILj6ELj32ELj18ELN6hipcub23BlockHistogramAlgorithmE1EhEvPT3_S3_
    .private_segment_fixed_size: 0
    .sgpr_count:     38
    .sgpr_spill_count: 0
    .symbol:         _Z16histogram_kernelILj6ELj32ELj18ELN6hipcub23BlockHistogramAlgorithmE1EhEvPT3_S3_.kd
    .uniform_work_group_size: 1
    .uses_dynamic_stack: false
    .vgpr_count:     123
    .vgpr_spill_count: 0
    .wavefront_size: 64
  - .agpr_count:     0
    .args:
      - .address_space:  global
        .offset:         0
        .size:           8
        .value_kind:     global_buffer
      - .address_space:  global
        .offset:         8
        .size:           8
        .value_kind:     global_buffer
    .group_segment_fixed_size: 16332
    .kernarg_segment_align: 8
    .kernarg_segment_size: 16
    .language:       OpenCL C
    .language_version:
      - 2
      - 0
    .max_flat_workgroup_size: 255
    .name:           _Z16histogram_kernelILj255ELj15ELj255ELN6hipcub23BlockHistogramAlgorithmE1EjEvPT3_S3_
    .private_segment_fixed_size: 0
    .sgpr_count:     42
    .sgpr_spill_count: 0
    .symbol:         _Z16histogram_kernelILj255ELj15ELj255ELN6hipcub23BlockHistogramAlgorithmE1EjEvPT3_S3_.kd
    .uniform_work_group_size: 1
    .uses_dynamic_stack: false
    .vgpr_count:     68
    .vgpr_spill_count: 0
    .wavefront_size: 64
  - .agpr_count:     0
    .args:
      - .address_space:  global
        .offset:         0
        .size:           8
        .value_kind:     global_buffer
      - .address_space:  global
        .offset:         8
        .size:           8
        .value_kind:     global_buffer
    .group_segment_fixed_size: 5848
    .kernarg_segment_align: 8
    .kernarg_segment_size: 16
    .language:       OpenCL C
    .language_version:
      - 2
      - 0
    .max_flat_workgroup_size: 162
    .name:           _Z16histogram_kernelILj162ELj7ELj162ELN6hipcub23BlockHistogramAlgorithmE1EjEvPT3_S3_
    .private_segment_fixed_size: 0
    .sgpr_count:     42
    .sgpr_spill_count: 0
    .symbol:         _Z16histogram_kernelILj162ELj7ELj162ELN6hipcub23BlockHistogramAlgorithmE1EjEvPT3_S3_.kd
    .uniform_work_group_size: 1
    .uses_dynamic_stack: false
    .vgpr_count:     44
    .vgpr_spill_count: 0
    .wavefront_size: 64
  - .agpr_count:     0
    .args:
      - .address_space:  global
        .offset:         0
        .size:           8
        .value_kind:     global_buffer
      - .address_space:  global
        .offset:         8
        .size:           8
        .value_kind:     global_buffer
    .group_segment_fixed_size: 2356
    .kernarg_segment_align: 8
    .kernarg_segment_size: 16
    .language:       OpenCL C
    .language_version:
      - 2
      - 0
    .max_flat_workgroup_size: 65
    .name:           _Z16histogram_kernelILj65ELj5ELj65ELN6hipcub23BlockHistogramAlgorithmE1EjEvPT3_S3_
    .private_segment_fixed_size: 0
    .sgpr_count:     44
    .sgpr_spill_count: 0
    .symbol:         _Z16histogram_kernelILj65ELj5ELj65ELN6hipcub23BlockHistogramAlgorithmE1EjEvPT3_S3_.kd
    .uniform_work_group_size: 1
    .uses_dynamic_stack: false
    .vgpr_count:     38
    .vgpr_spill_count: 0
    .wavefront_size: 64
  - .agpr_count:     0
    .args:
      - .address_space:  global
        .offset:         0
        .size:           8
        .value_kind:     global_buffer
      - .address_space:  global
        .offset:         8
        .size:           8
        .value_kind:     global_buffer
    .group_segment_fixed_size: 1348
    .kernarg_segment_align: 8
    .kernarg_segment_size: 16
    .language:       OpenCL C
    .language_version:
      - 2
      - 0
    .max_flat_workgroup_size: 37
    .name:           _Z16histogram_kernelILj37ELj2ELj37ELN6hipcub23BlockHistogramAlgorithmE1EjEvPT3_S3_
    .private_segment_fixed_size: 0
    .sgpr_count:     36
    .sgpr_spill_count: 0
    .symbol:         _Z16histogram_kernelILj37ELj2ELj37ELN6hipcub23BlockHistogramAlgorithmE1EjEvPT3_S3_.kd
    .uniform_work_group_size: 1
    .uses_dynamic_stack: false
    .vgpr_count:     27
    .vgpr_spill_count: 0
    .wavefront_size: 64
  - .agpr_count:     0
    .args:
      - .address_space:  global
        .offset:         0
        .size:           8
        .value_kind:     global_buffer
      - .address_space:  global
        .offset:         8
        .size:           8
        .value_kind:     global_buffer
      - .offset:         16
        .size:           4
        .value_kind:     hidden_block_count_x
      - .offset:         20
        .size:           4
        .value_kind:     hidden_block_count_y
      - .offset:         24
        .size:           4
        .value_kind:     hidden_block_count_z
      - .offset:         28
        .size:           2
        .value_kind:     hidden_group_size_x
      - .offset:         30
        .size:           2
        .value_kind:     hidden_group_size_y
      - .offset:         32
        .size:           2
        .value_kind:     hidden_group_size_z
      - .offset:         34
        .size:           2
        .value_kind:     hidden_remainder_x
      - .offset:         36
        .size:           2
        .value_kind:     hidden_remainder_y
      - .offset:         38
        .size:           2
        .value_kind:     hidden_remainder_z
      - .offset:         56
        .size:           8
        .value_kind:     hidden_global_offset_x
      - .offset:         64
        .size:           8
        .value_kind:     hidden_global_offset_y
      - .offset:         72
        .size:           8
        .value_kind:     hidden_global_offset_z
      - .offset:         80
        .size:           2
        .value_kind:     hidden_grid_dims
    .group_segment_fixed_size: 20544
    .kernarg_segment_align: 8
    .kernarg_segment_size: 272
    .language:       OpenCL C
    .language_version:
      - 2
      - 0
    .max_flat_workgroup_size: 1024
    .name:           _Z16histogram_kernelILj1024ELj1ELj1024ELN6hipcub23BlockHistogramAlgorithmE1EjEvPT3_S3_
    .private_segment_fixed_size: 0
    .sgpr_count:     36
    .sgpr_spill_count: 0
    .symbol:         _Z16histogram_kernelILj1024ELj1ELj1024ELN6hipcub23BlockHistogramAlgorithmE1EjEvPT3_S3_.kd
    .uniform_work_group_size: 1
    .uses_dynamic_stack: false
    .vgpr_count:     22
    .vgpr_spill_count: 0
    .wavefront_size: 64
  - .agpr_count:     0
    .args:
      - .address_space:  global
        .offset:         0
        .size:           8
        .value_kind:     global_buffer
      - .address_space:  global
        .offset:         8
        .size:           8
        .value_kind:     global_buffer
      - .offset:         16
        .size:           4
        .value_kind:     hidden_block_count_x
      - .offset:         20
        .size:           4
        .value_kind:     hidden_block_count_y
      - .offset:         24
        .size:           4
        .value_kind:     hidden_block_count_z
      - .offset:         28
        .size:           2
        .value_kind:     hidden_group_size_x
      - .offset:         30
        .size:           2
        .value_kind:     hidden_group_size_y
      - .offset:         32
        .size:           2
        .value_kind:     hidden_group_size_z
      - .offset:         34
        .size:           2
        .value_kind:     hidden_remainder_x
      - .offset:         36
        .size:           2
        .value_kind:     hidden_remainder_y
      - .offset:         38
        .size:           2
        .value_kind:     hidden_remainder_z
      - .offset:         56
        .size:           8
        .value_kind:     hidden_global_offset_x
      - .offset:         64
        .size:           8
        .value_kind:     hidden_global_offset_y
      - .offset:         72
        .size:           8
        .value_kind:     hidden_global_offset_z
      - .offset:         80
        .size:           2
        .value_kind:     hidden_grid_dims
    .group_segment_fixed_size: 10272
    .kernarg_segment_align: 8
    .kernarg_segment_size: 272
    .language:       OpenCL C
    .language_version:
      - 2
      - 0
    .max_flat_workgroup_size: 512
    .name:           _Z16histogram_kernelILj512ELj4ELj512ELN6hipcub23BlockHistogramAlgorithmE1EjEvPT3_S3_
    .private_segment_fixed_size: 0
    .sgpr_count:     46
    .sgpr_spill_count: 0
    .symbol:         _Z16histogram_kernelILj512ELj4ELj512ELN6hipcub23BlockHistogramAlgorithmE1EjEvPT3_S3_.kd
    .uniform_work_group_size: 1
    .uses_dynamic_stack: false
    .vgpr_count:     31
    .vgpr_spill_count: 0
    .wavefront_size: 64
  - .agpr_count:     0
    .args:
      - .address_space:  global
        .offset:         0
        .size:           8
        .value_kind:     global_buffer
      - .address_space:  global
        .offset:         8
        .size:           8
        .value_kind:     global_buffer
      - .offset:         16
        .size:           4
        .value_kind:     hidden_block_count_x
      - .offset:         20
        .size:           4
        .value_kind:     hidden_block_count_y
      - .offset:         24
        .size:           4
        .value_kind:     hidden_block_count_z
      - .offset:         28
        .size:           2
        .value_kind:     hidden_group_size_x
      - .offset:         30
        .size:           2
        .value_kind:     hidden_group_size_y
      - .offset:         32
        .size:           2
        .value_kind:     hidden_group_size_z
      - .offset:         34
        .size:           2
        .value_kind:     hidden_remainder_x
      - .offset:         36
        .size:           2
        .value_kind:     hidden_remainder_y
      - .offset:         38
        .size:           2
        .value_kind:     hidden_remainder_z
      - .offset:         56
        .size:           8
        .value_kind:     hidden_global_offset_x
      - .offset:         64
        .size:           8
        .value_kind:     hidden_global_offset_y
      - .offset:         72
        .size:           8
        .value_kind:     hidden_global_offset_z
      - .offset:         80
        .size:           2
        .value_kind:     hidden_grid_dims
    .group_segment_fixed_size: 8192
    .kernarg_segment_align: 8
    .kernarg_segment_size: 272
    .language:       OpenCL C
    .language_version:
      - 2
      - 0
    .max_flat_workgroup_size: 256
    .name:           _Z16histogram_kernelILj256ELj3ELj512ELN6hipcub23BlockHistogramAlgorithmE1EjEvPT3_S3_
    .private_segment_fixed_size: 0
    .sgpr_count:     46
    .sgpr_spill_count: 0
    .symbol:         _Z16histogram_kernelILj256ELj3ELj512ELN6hipcub23BlockHistogramAlgorithmE1EjEvPT3_S3_.kd
    .uniform_work_group_size: 1
    .uses_dynamic_stack: false
    .vgpr_count:     27
    .vgpr_spill_count: 0
    .wavefront_size: 64
  - .agpr_count:     0
    .args:
      - .address_space:  global
        .offset:         0
        .size:           8
        .value_kind:     global_buffer
      - .address_space:  global
        .offset:         8
        .size:           8
        .value_kind:     global_buffer
    .group_segment_fixed_size: 1296
    .kernarg_segment_align: 8
    .kernarg_segment_size: 16
    .language:       OpenCL C
    .language_version:
      - 2
      - 0
    .max_flat_workgroup_size: 32
    .name:           _Z16histogram_kernelILj32ELj2ELj64ELN6hipcub23BlockHistogramAlgorithmE1EjEvPT3_S3_
    .private_segment_fixed_size: 0
    .sgpr_count:     42
    .sgpr_spill_count: 0
    .symbol:         _Z16histogram_kernelILj32ELj2ELj64ELN6hipcub23BlockHistogramAlgorithmE1EjEvPT3_S3_.kd
    .uniform_work_group_size: 1
    .uses_dynamic_stack: false
    .vgpr_count:     23
    .vgpr_spill_count: 0
    .wavefront_size: 64
  - .agpr_count:     0
    .args:
      - .address_space:  global
        .offset:         0
        .size:           8
        .value_kind:     global_buffer
      - .address_space:  global
        .offset:         8
        .size:           8
        .value_kind:     global_buffer
    .group_segment_fixed_size: 840
    .kernarg_segment_align: 8
    .kernarg_segment_size: 16
    .language:       OpenCL C
    .language_version:
      - 2
      - 0
    .max_flat_workgroup_size: 6
    .name:           _Z16histogram_kernelILj6ELj32ELj18ELN6hipcub23BlockHistogramAlgorithmE1EjEvPT3_S3_
    .private_segment_fixed_size: 0
    .sgpr_count:     35
    .sgpr_spill_count: 0
    .symbol:         _Z16histogram_kernelILj6ELj32ELj18ELN6hipcub23BlockHistogramAlgorithmE1EjEvPT3_S3_.kd
    .uniform_work_group_size: 1
    .uses_dynamic_stack: false
    .vgpr_count:     124
    .vgpr_spill_count: 0
    .wavefront_size: 64
  - .agpr_count:     0
    .args:
      - .address_space:  global
        .offset:         0
        .size:           8
        .value_kind:     global_buffer
      - .address_space:  global
        .offset:         8
        .size:           8
        .value_kind:     global_buffer
    .group_segment_fixed_size: 1020
    .kernarg_segment_align: 8
    .kernarg_segment_size: 16
    .language:       OpenCL C
    .language_version:
      - 2
      - 0
    .max_flat_workgroup_size: 255
    .name:           _Z16histogram_kernelILj255ELj15ELj255ELN6hipcub23BlockHistogramAlgorithmE0EjEvPT3_S3_
    .private_segment_fixed_size: 0
    .sgpr_count:     11
    .sgpr_spill_count: 0
    .symbol:         _Z16histogram_kernelILj255ELj15ELj255ELN6hipcub23BlockHistogramAlgorithmE0EjEvPT3_S3_.kd
    .uniform_work_group_size: 1
    .uses_dynamic_stack: false
    .vgpr_count:     36
    .vgpr_spill_count: 0
    .wavefront_size: 64
  - .agpr_count:     0
    .args:
      - .address_space:  global
        .offset:         0
        .size:           8
        .value_kind:     global_buffer
      - .address_space:  global
        .offset:         8
        .size:           8
        .value_kind:     global_buffer
    .group_segment_fixed_size: 648
    .kernarg_segment_align: 8
    .kernarg_segment_size: 16
    .language:       OpenCL C
    .language_version:
      - 2
      - 0
    .max_flat_workgroup_size: 162
    .name:           _Z16histogram_kernelILj162ELj7ELj162ELN6hipcub23BlockHistogramAlgorithmE0EjEvPT3_S3_
    .private_segment_fixed_size: 0
    .sgpr_count:     11
    .sgpr_spill_count: 0
    .symbol:         _Z16histogram_kernelILj162ELj7ELj162ELN6hipcub23BlockHistogramAlgorithmE0EjEvPT3_S3_.kd
    .uniform_work_group_size: 1
    .uses_dynamic_stack: false
    .vgpr_count:     28
    .vgpr_spill_count: 0
    .wavefront_size: 64
  - .agpr_count:     0
    .args:
      - .address_space:  global
        .offset:         0
        .size:           8
        .value_kind:     global_buffer
      - .address_space:  global
        .offset:         8
        .size:           8
        .value_kind:     global_buffer
    .group_segment_fixed_size: 260
    .kernarg_segment_align: 8
    .kernarg_segment_size: 16
    .language:       OpenCL C
    .language_version:
      - 2
      - 0
    .max_flat_workgroup_size: 65
    .name:           _Z16histogram_kernelILj65ELj5ELj65ELN6hipcub23BlockHistogramAlgorithmE0EjEvPT3_S3_
    .private_segment_fixed_size: 0
    .sgpr_count:     11
    .sgpr_spill_count: 0
    .symbol:         _Z16histogram_kernelILj65ELj5ELj65ELN6hipcub23BlockHistogramAlgorithmE0EjEvPT3_S3_.kd
    .uniform_work_group_size: 1
    .uses_dynamic_stack: false
    .vgpr_count:     22
    .vgpr_spill_count: 0
    .wavefront_size: 64
  - .agpr_count:     0
    .args:
      - .address_space:  global
        .offset:         0
        .size:           8
        .value_kind:     global_buffer
      - .address_space:  global
        .offset:         8
        .size:           8
        .value_kind:     global_buffer
    .group_segment_fixed_size: 148
    .kernarg_segment_align: 8
    .kernarg_segment_size: 16
    .language:       OpenCL C
    .language_version:
      - 2
      - 0
    .max_flat_workgroup_size: 37
    .name:           _Z16histogram_kernelILj37ELj2ELj37ELN6hipcub23BlockHistogramAlgorithmE0EjEvPT3_S3_
    .private_segment_fixed_size: 0
    .sgpr_count:     11
    .sgpr_spill_count: 0
    .symbol:         _Z16histogram_kernelILj37ELj2ELj37ELN6hipcub23BlockHistogramAlgorithmE0EjEvPT3_S3_.kd
    .uniform_work_group_size: 1
    .uses_dynamic_stack: false
    .vgpr_count:     9
    .vgpr_spill_count: 0
    .wavefront_size: 64
  - .agpr_count:     0
    .args:
      - .address_space:  global
        .offset:         0
        .size:           8
        .value_kind:     global_buffer
      - .address_space:  global
        .offset:         8
        .size:           8
        .value_kind:     global_buffer
    .group_segment_fixed_size: 4096
    .kernarg_segment_align: 8
    .kernarg_segment_size: 16
    .language:       OpenCL C
    .language_version:
      - 2
      - 0
    .max_flat_workgroup_size: 1024
    .name:           _Z16histogram_kernelILj1024ELj1ELj1024ELN6hipcub23BlockHistogramAlgorithmE0EjEvPT3_S3_
    .private_segment_fixed_size: 0
    .sgpr_count:     24
    .sgpr_spill_count: 0
    .symbol:         _Z16histogram_kernelILj1024ELj1ELj1024ELN6hipcub23BlockHistogramAlgorithmE0EjEvPT3_S3_.kd
    .uniform_work_group_size: 1
    .uses_dynamic_stack: false
    .vgpr_count:     24
    .vgpr_spill_count: 0
    .wavefront_size: 64
  - .agpr_count:     0
    .args:
      - .address_space:  global
        .offset:         0
        .size:           8
        .value_kind:     global_buffer
      - .address_space:  global
        .offset:         8
        .size:           8
        .value_kind:     global_buffer
    .group_segment_fixed_size: 2048
    .kernarg_segment_align: 8
    .kernarg_segment_size: 16
    .language:       OpenCL C
    .language_version:
      - 2
      - 0
    .max_flat_workgroup_size: 512
    .name:           _Z16histogram_kernelILj512ELj4ELj512ELN6hipcub23BlockHistogramAlgorithmE0EjEvPT3_S3_
    .private_segment_fixed_size: 0
    .sgpr_count:     11
    .sgpr_spill_count: 0
    .symbol:         _Z16histogram_kernelILj512ELj4ELj512ELN6hipcub23BlockHistogramAlgorithmE0EjEvPT3_S3_.kd
    .uniform_work_group_size: 1
    .uses_dynamic_stack: false
    .vgpr_count:     11
    .vgpr_spill_count: 0
    .wavefront_size: 64
  - .agpr_count:     0
    .args:
      - .address_space:  global
        .offset:         0
        .size:           8
        .value_kind:     global_buffer
      - .address_space:  global
        .offset:         8
        .size:           8
        .value_kind:     global_buffer
    .group_segment_fixed_size: 2048
    .kernarg_segment_align: 8
    .kernarg_segment_size: 16
    .language:       OpenCL C
    .language_version:
      - 2
      - 0
    .max_flat_workgroup_size: 256
    .name:           _Z16histogram_kernelILj256ELj3ELj512ELN6hipcub23BlockHistogramAlgorithmE0EjEvPT3_S3_
    .private_segment_fixed_size: 0
    .sgpr_count:     16
    .sgpr_spill_count: 0
    .symbol:         _Z16histogram_kernelILj256ELj3ELj512ELN6hipcub23BlockHistogramAlgorithmE0EjEvPT3_S3_.kd
    .uniform_work_group_size: 1
    .uses_dynamic_stack: false
    .vgpr_count:     14
    .vgpr_spill_count: 0
    .wavefront_size: 64
  - .agpr_count:     0
    .args:
      - .address_space:  global
        .offset:         0
        .size:           8
        .value_kind:     global_buffer
      - .address_space:  global
        .offset:         8
        .size:           8
        .value_kind:     global_buffer
    .group_segment_fixed_size: 256
    .kernarg_segment_align: 8
    .kernarg_segment_size: 16
    .language:       OpenCL C
    .language_version:
      - 2
      - 0
    .max_flat_workgroup_size: 32
    .name:           _Z16histogram_kernelILj32ELj2ELj64ELN6hipcub23BlockHistogramAlgorithmE0EjEvPT3_S3_
    .private_segment_fixed_size: 0
    .sgpr_count:     16
    .sgpr_spill_count: 0
    .symbol:         _Z16histogram_kernelILj32ELj2ELj64ELN6hipcub23BlockHistogramAlgorithmE0EjEvPT3_S3_.kd
    .uniform_work_group_size: 1
    .uses_dynamic_stack: false
    .vgpr_count:     9
    .vgpr_spill_count: 0
    .wavefront_size: 64
  - .agpr_count:     0
    .args:
      - .address_space:  global
        .offset:         0
        .size:           8
        .value_kind:     global_buffer
      - .address_space:  global
        .offset:         8
        .size:           8
        .value_kind:     global_buffer
    .group_segment_fixed_size: 72
    .kernarg_segment_align: 8
    .kernarg_segment_size: 16
    .language:       OpenCL C
    .language_version:
      - 2
      - 0
    .max_flat_workgroup_size: 6
    .name:           _Z16histogram_kernelILj6ELj32ELj18ELN6hipcub23BlockHistogramAlgorithmE0EjEvPT3_S3_
    .private_segment_fixed_size: 0
    .sgpr_count:     16
    .sgpr_spill_count: 0
    .symbol:         _Z16histogram_kernelILj6ELj32ELj18ELN6hipcub23BlockHistogramAlgorithmE0EjEvPT3_S3_.kd
    .uniform_work_group_size: 1
    .uses_dynamic_stack: false
    .vgpr_count:     39
    .vgpr_spill_count: 0
    .wavefront_size: 64
amdhsa.target:   amdgcn-amd-amdhsa--gfx90a
amdhsa.version:
  - 1
  - 2
...

	.end_amdgpu_metadata
